;; amdgpu-corpus repo=ROCm/rocFFT kind=compiled arch=gfx906 opt=O3
	.text
	.amdgcn_target "amdgcn-amd-amdhsa--gfx906"
	.amdhsa_code_object_version 6
	.protected	bluestein_single_back_len297_dim1_dp_op_CI_CI ; -- Begin function bluestein_single_back_len297_dim1_dp_op_CI_CI
	.globl	bluestein_single_back_len297_dim1_dp_op_CI_CI
	.p2align	8
	.type	bluestein_single_back_len297_dim1_dp_op_CI_CI,@function
bluestein_single_back_len297_dim1_dp_op_CI_CI: ; @bluestein_single_back_len297_dim1_dp_op_CI_CI
; %bb.0:
	v_mul_u32_u24_e32 v1, 0x7c2, v0
	s_mov_b64 s[46:47], s[2:3]
	s_load_dwordx4 s[16:19], s[4:5], 0x28
	v_lshrrev_b32_e32 v1, 16, v1
	s_mov_b64 s[44:45], s[0:1]
	v_mad_u64_u32 v[144:145], s[0:1], s6, 7, v[1:2]
	v_mov_b32_e32 v145, 0
	s_add_u32 s44, s44, s7
	s_waitcnt lgkmcnt(0)
	v_cmp_gt_u64_e32 vcc, s[16:17], v[144:145]
	s_addc_u32 s45, s45, 0
	s_and_saveexec_b64 s[0:1], vcc
	s_cbranch_execz .LBB0_10
; %bb.1:
	s_load_dwordx4 s[0:3], s[4:5], 0x18
	s_load_dwordx4 s[12:15], s[4:5], 0x0
	v_mul_lo_u16_e32 v1, 33, v1
	v_sub_u16_e32 v255, v0, v1
	v_lshlrev_b32_e32 v76, 4, v255
	s_waitcnt lgkmcnt(0)
	s_load_dwordx4 s[8:11], s[0:1], 0x0
	s_mov_b32 s20, 0xa2cf5039
	s_mov_b32 s21, 0x3fe8836f
	;; [unrolled: 1-line block ×4, first 2 shown]
	s_waitcnt lgkmcnt(0)
	v_mad_u64_u32 v[0:1], s[0:1], s10, v144, 0
	v_mad_u64_u32 v[2:3], s[0:1], s8, v255, 0
	s_mul_hi_u32 s6, s8, 0x210
	s_mul_i32 s7, s8, 0x210
	v_mad_u64_u32 v[4:5], s[0:1], s11, v144, v[1:2]
	s_mov_b32 s17, 0x3fd5e3a8
	s_mov_b32 s23, 0x3fc63a1a
	v_mad_u64_u32 v[5:6], s[0:1], s9, v255, v[3:4]
	v_mov_b32_e32 v1, v4
	v_lshlrev_b64 v[0:1], 4, v[0:1]
	v_mov_b32_e32 v6, s19
	v_mov_b32_e32 v3, v5
	v_add_co_u32_e32 v4, vcc, s18, v0
	v_addc_co_u32_e32 v5, vcc, v6, v1, vcc
	v_lshlrev_b64 v[0:1], 4, v[2:3]
	v_mov_b32_e32 v2, s13
	v_add_co_u32_e32 v0, vcc, v4, v0
	v_addc_co_u32_e32 v1, vcc, v5, v1, vcc
	v_add_co_u32_e32 v231, vcc, s12, v76
	v_addc_co_u32_e64 v14, s[0:1], 0, v2, vcc
	global_load_dwordx4 v[36:39], v[0:1], off
	s_mul_i32 s0, s9, 0x210
	s_add_i32 s6, s6, s0
	global_load_dwordx4 v[32:35], v76, s[12:13]
	global_load_dwordx4 v[16:19], v76, s[12:13] offset:528
	v_mov_b32_e32 v2, s6
	v_add_co_u32_e64 v0, s[0:1], s7, v0
	v_addc_co_u32_e64 v1, s[0:1], v1, v2, s[0:1]
	v_mov_b32_e32 v3, s6
	v_add_co_u32_e64 v2, s[0:1], s7, v0
	v_addc_co_u32_e64 v3, s[0:1], v1, v3, s[0:1]
	global_load_dwordx4 v[40:43], v[0:1], off
	global_load_dwordx4 v[44:47], v[2:3], off
	v_mov_b32_e32 v1, s6
	v_add_co_u32_e64 v0, s[0:1], s7, v2
	v_addc_co_u32_e64 v1, s[0:1], v3, v1, s[0:1]
	v_mov_b32_e32 v3, s6
	v_add_co_u32_e64 v2, s[0:1], s7, v0
	v_addc_co_u32_e64 v3, s[0:1], v1, v3, s[0:1]
	global_load_dwordx4 v[24:27], v76, s[12:13] offset:1056
	global_load_dwordx4 v[8:11], v76, s[12:13] offset:1584
	global_load_dwordx4 v[48:51], v[0:1], off
	global_load_dwordx4 v[52:55], v[2:3], off
	v_mov_b32_e32 v1, s6
	v_add_co_u32_e64 v0, s[0:1], s7, v2
	v_addc_co_u32_e64 v1, s[0:1], v3, v1, s[0:1]
	global_load_dwordx4 v[56:59], v[0:1], off
	global_load_dwordx4 v[28:31], v76, s[12:13] offset:2112
	global_load_dwordx4 v[4:7], v76, s[12:13] offset:2640
	v_mov_b32_e32 v2, s6
	v_add_co_u32_e64 v0, s[0:1], s7, v0
	v_addc_co_u32_e64 v1, s[0:1], v1, v2, s[0:1]
	v_add_co_u32_e64 v12, s[0:1], s7, v0
	v_addc_co_u32_e64 v13, s[0:1], v1, v2, s[0:1]
	v_mov_b32_e32 v15, s6
	v_add_co_u32_e64 v72, s[0:1], s7, v12
	v_addc_co_u32_e64 v73, s[0:1], v13, v15, s[0:1]
	s_movk_i32 s0, 0x1000
	global_load_dwordx4 v[60:63], v[0:1], off
	v_add_co_u32_e64 v74, s[0:1], s0, v231
	global_load_dwordx4 v[64:67], v[12:13], off
	global_load_dwordx4 v[20:23], v76, s[12:13] offset:3168
	global_load_dwordx4 v[0:3], v76, s[12:13] offset:3696
	v_addc_co_u32_e64 v75, s[0:1], 0, v14, s[0:1]
	global_load_dwordx4 v[12:15], v[74:75], off offset:128
	global_load_dwordx4 v[68:71], v[72:73], off
	s_mov_b32 s0, 0x24924925
	v_mul_hi_u32 v77, v144, s0
	s_load_dwordx4 s[8:11], s[2:3], 0x0
	s_mov_b32 s7, 0x3fe491b7
	s_mov_b32 s6, 0x523c161c
	v_sub_u32_e32 v78, v144, v77
	v_lshrrev_b32_e32 v78, 1, v78
	v_add_u32_e32 v77, v78, v77
	v_lshrrev_b32_e32 v77, 2, v77
	v_mul_lo_u32 v77, v77, 7
	s_mov_b32 s18, 0x8c811c17
	s_mov_b32 s19, 0x3fef838b
	;; [unrolled: 1-line block ×8, first 2 shown]
	s_load_dwordx2 s[4:5], s[4:5], 0x38
	s_waitcnt vmcnt(16)
	v_mul_f64 v[72:73], v[38:39], v[34:35]
	v_mul_f64 v[74:75], v[36:37], v[34:35]
	v_fma_f64 v[36:37], v[36:37], v[32:33], v[72:73]
	v_sub_u32_e32 v72, v144, v77
	v_mul_u32_u24_e32 v72, 0x129, v72
	v_lshlrev_b32_e32 v227, 4, v72
	v_fma_f64 v[38:39], v[38:39], v[32:33], -v[74:75]
	v_add_u32_e32 v235, v76, v227
	s_waitcnt vmcnt(14)
	v_mul_f64 v[72:73], v[42:43], v[18:19]
	v_mul_f64 v[74:75], v[40:41], v[18:19]
	ds_write_b128 v235, v[36:39]
	s_waitcnt vmcnt(12)
	v_mul_f64 v[76:77], v[46:47], v[26:27]
	v_mul_f64 v[78:79], v[44:45], v[26:27]
	s_waitcnt vmcnt(10)
	v_mul_f64 v[80:81], v[50:51], v[10:11]
	v_mul_f64 v[82:83], v[48:49], v[10:11]
	v_fma_f64 v[36:37], v[40:41], v[16:17], v[72:73]
	v_fma_f64 v[38:39], v[42:43], v[16:17], -v[74:75]
	s_waitcnt vmcnt(7)
	v_mul_f64 v[84:85], v[54:55], v[30:31]
	v_mul_f64 v[86:87], v[52:53], v[30:31]
	v_fma_f64 v[40:41], v[44:45], v[24:25], v[76:77]
	v_fma_f64 v[42:43], v[46:47], v[24:25], -v[78:79]
	v_fma_f64 v[44:45], v[48:49], v[8:9], v[80:81]
	v_fma_f64 v[46:47], v[50:51], v[8:9], -v[82:83]
	;; [unrolled: 2-line block ×3, first 2 shown]
	s_waitcnt vmcnt(6)
	v_mul_f64 v[52:53], v[58:59], v[6:7]
	v_mul_f64 v[54:55], v[56:57], v[6:7]
	v_fma_f64 v[52:53], v[56:57], v[4:5], v[52:53]
	s_waitcnt vmcnt(3)
	v_mul_f64 v[72:73], v[62:63], v[22:23]
	v_mul_f64 v[74:75], v[60:61], v[22:23]
	s_waitcnt vmcnt(2)
	v_mul_f64 v[76:77], v[66:67], v[2:3]
	v_mul_f64 v[78:79], v[64:65], v[2:3]
	;; [unrolled: 3-line block ×3, first 2 shown]
	v_fma_f64 v[54:55], v[58:59], v[4:5], -v[54:55]
	v_fma_f64 v[56:57], v[60:61], v[20:21], v[72:73]
	v_fma_f64 v[58:59], v[62:63], v[20:21], -v[74:75]
	v_fma_f64 v[60:61], v[64:65], v[0:1], v[76:77]
	;; [unrolled: 2-line block ×3, first 2 shown]
	v_fma_f64 v[66:67], v[70:71], v[12:13], -v[82:83]
	ds_write_b128 v235, v[36:39] offset:528
	ds_write_b128 v235, v[40:43] offset:1056
	;; [unrolled: 1-line block ×8, first 2 shown]
	s_waitcnt lgkmcnt(0)
	s_barrier
	ds_read_b128 v[36:39], v235
	ds_read_b128 v[40:43], v235 offset:528
	ds_read_b128 v[44:47], v235 offset:4224
	;; [unrolled: 1-line block ×6, first 2 shown]
	s_waitcnt lgkmcnt(4)
	v_add_f64 v[72:73], v[40:41], -v[44:45]
	v_add_f64 v[74:75], v[42:43], -v[46:47]
	v_add_f64 v[84:85], v[40:41], v[44:45]
	v_add_f64 v[86:87], v[42:43], v[46:47]
	s_waitcnt lgkmcnt(0)
	v_add_f64 v[76:77], v[48:49], -v[60:61]
	v_add_f64 v[78:79], v[50:51], -v[62:63]
	;; [unrolled: 1-line block ×4, first 2 shown]
	v_mul_f64 v[80:81], v[72:73], s[6:7]
	v_mul_f64 v[82:83], v[74:75], s[6:7]
	ds_read_b128 v[64:67], v235 offset:2112
	ds_read_b128 v[68:71], v235 offset:2640
	v_add_f64 v[60:61], v[48:49], v[60:61]
	v_add_f64 v[62:63], v[50:51], v[62:63]
	;; [unrolled: 1-line block ×4, first 2 shown]
	s_waitcnt lgkmcnt(0)
	v_add_f64 v[56:57], v[64:65], -v[68:69]
	v_fma_f64 v[40:41], v[76:77], s[18:19], v[80:81]
	v_fma_f64 v[42:43], v[78:79], s[18:19], v[82:83]
	v_add_f64 v[58:59], v[66:67], -v[70:71]
	v_fma_f64 v[44:45], v[84:85], s[20:21], v[36:37]
	v_fma_f64 v[46:47], v[86:87], s[20:21], v[38:39]
	v_add_f64 v[80:81], v[64:65], v[68:69]
	v_add_f64 v[82:83], v[66:67], v[70:71]
	s_mov_b32 s7, 0xbfe491b7
	v_fma_f64 v[40:41], v[88:89], s[0:1], v[40:41]
	v_fma_f64 v[42:43], v[90:91], s[0:1], v[42:43]
	v_mul_f64 v[50:51], v[58:59], s[6:7]
	v_add_f64 v[100:101], v[58:59], v[74:75]
	v_fma_f64 v[102:103], v[62:63], s[20:21], v[38:39]
	v_fma_f64 v[92:93], v[80:81], s[20:21], v[36:37]
	;; [unrolled: 1-line block ×7, first 2 shown]
	v_mul_f64 v[42:43], v[56:57], s[6:7]
	v_fma_f64 v[50:51], v[74:75], s[18:19], v[50:51]
	v_fma_f64 v[92:93], v[84:85], s[22:23], v[92:93]
	v_fma_f64 v[94:95], v[86:87], s[22:23], v[94:95]
	v_mul_f64 v[58:59], v[58:59], s[18:19]
	v_fma_f64 v[40:41], v[52:53], -0.5, v[40:41]
	v_fma_f64 v[44:45], v[54:55], -0.5, v[44:45]
	v_fma_f64 v[102:103], v[82:83], s[22:23], v[102:103]
	v_fma_f64 v[42:43], v[72:73], s[18:19], v[42:43]
	;; [unrolled: 1-line block ×3, first 2 shown]
	v_fma_f64 v[92:93], v[52:53], -0.5, v[92:93]
	v_fma_f64 v[94:95], v[54:55], -0.5, v[94:95]
	v_fma_f64 v[58:59], v[78:79], s[6:7], -v[58:59]
	v_fma_f64 v[40:41], v[80:81], s[24:25], v[40:41]
	v_fma_f64 v[44:45], v[82:83], s[24:25], v[44:45]
	s_barrier
	v_fma_f64 v[96:97], v[88:89], s[2:3], v[42:43]
	v_fma_f64 v[98:99], v[78:79], s[16:17], v[50:51]
	v_fma_f64 v[50:51], v[60:61], s[24:25], v[92:93]
	v_fma_f64 v[92:93], v[62:63], s[24:25], v[94:95]
	v_add_f64 v[94:95], v[56:57], v[72:73]
	v_add_f64 v[40:41], v[46:47], v[40:41]
	v_add_f64 v[42:43], v[44:45], -v[48:49]
	v_mul_f64 v[56:57], v[56:57], s[18:19]
	v_fma_f64 v[96:97], v[76:77], s[16:17], v[96:97]
	v_add_f64 v[62:63], v[62:63], v[86:87]
	v_fma_f64 v[58:59], v[90:91], s[0:1], v[58:59]
	v_fma_f64 v[44:45], v[46:47], -2.0, v[40:41]
	v_fma_f64 v[46:47], v[48:49], 2.0, v[42:43]
	v_add_f64 v[48:49], v[50:51], v[98:99]
	v_add_f64 v[50:51], v[92:93], -v[96:97]
	v_add_f64 v[92:93], v[94:95], -v[76:77]
	;; [unrolled: 1-line block ×3, first 2 shown]
	v_fma_f64 v[100:101], v[60:61], s[20:21], v[36:37]
	v_add_f64 v[60:61], v[60:61], v[84:85]
	v_fma_f64 v[56:57], v[76:77], s[6:7], -v[56:57]
	v_add_f64 v[82:83], v[82:83], v[62:63]
	v_add_f64 v[62:63], v[54:55], v[62:63]
	;; [unrolled: 1-line block ×4, first 2 shown]
	v_fma_f64 v[54:55], v[54:55], -0.5, v[102:103]
	v_fma_f64 v[100:101], v[80:81], s[22:23], v[100:101]
	v_add_f64 v[80:81], v[80:81], v[60:61]
	v_fma_f64 v[56:57], v[88:89], s[0:1], v[56:57]
	v_add_f64 v[60:61], v[52:53], v[60:61]
	;; [unrolled: 2-line block ×3, first 2 shown]
	v_fma_f64 v[78:79], v[82:83], -0.5, v[78:79]
	v_fma_f64 v[62:63], v[86:87], s[24:25], v[54:55]
	v_fma_f64 v[52:53], v[52:53], -0.5, v[100:101]
	v_fma_f64 v[76:77], v[80:81], -0.5, v[76:77]
	v_fma_f64 v[72:73], v[72:73], s[16:17], v[56:57]
	v_add_f64 v[56:57], v[64:65], v[60:61]
	v_mul_f64 v[66:67], v[92:93], s[0:1]
	v_add_f64 v[70:71], v[70:71], v[58:59]
	v_mul_f64 v[64:65], v[94:95], s[0:1]
	v_fma_f64 v[54:55], v[92:93], s[2:3], v[78:79]
	v_fma_f64 v[60:61], v[84:85], s[24:25], v[52:53]
	;; [unrolled: 1-line block ×3, first 2 shown]
	v_add_f64 v[58:59], v[62:63], -v[72:73]
	v_add_f64 v[68:69], v[68:69], v[56:57]
	v_fma_f64 v[62:63], v[96:97], 2.0, v[50:51]
	v_add_f64 v[38:39], v[38:39], v[70:71]
	s_mov_b32 s0, 0xe8584caa
	v_fma_f64 v[66:67], v[66:67], 2.0, v[54:55]
	v_add_f64 v[56:57], v[74:75], v[60:61]
	v_fma_f64 v[64:65], v[64:65], -2.0, v[52:53]
	v_fma_f64 v[70:71], v[72:73], 2.0, v[58:59]
	v_add_f64 v[36:37], v[36:37], v[68:69]
	v_mul_lo_u16_e32 v72, 9, v255
	v_fma_f64 v[60:61], v[98:99], -2.0, v[48:49]
	v_lshl_add_u32 v232, v72, 4, v227
	s_mov_b32 s2, s0
	v_fma_f64 v[68:69], v[74:75], -2.0, v[56:57]
	ds_write_b128 v232, v[36:39]
	ds_write_b128 v232, v[40:43] offset:16
	ds_write_b128 v232, v[48:51] offset:32
	;; [unrolled: 1-line block ×8, first 2 shown]
	v_mov_b32_e32 v40, 57
	v_mul_lo_u16_sdwa v36, v255, v40 dst_sel:DWORD dst_unused:UNUSED_PAD src0_sel:BYTE_0 src1_sel:DWORD
	v_lshrrev_b16_e32 v136, 9, v36
	v_mul_lo_u16_e32 v36, 9, v136
	v_sub_u16_e32 v137, v255, v36
	v_lshlrev_b16_e32 v36, 1, v137
	v_and_b32_e32 v36, 0xfe, v36
	v_lshlrev_b32_e32 v41, 4, v36
	s_waitcnt lgkmcnt(0)
	s_barrier
	global_load_dwordx4 v[36:39], v41, s[14:15] offset:16
	global_load_dwordx4 v[48:51], v41, s[14:15]
	v_add_u16_e32 v41, 33, v255
	v_mul_lo_u16_sdwa v42, v41, v40 dst_sel:DWORD dst_unused:UNUSED_PAD src0_sel:BYTE_0 src1_sel:DWORD
	v_lshrrev_b16_e32 v138, 9, v42
	v_mul_lo_u16_e32 v42, 9, v138
	v_sub_u16_e32 v139, v41, v42
	v_mov_b32_e32 v41, 5
	v_lshlrev_b32_sdwa v42, v41, v139 dst_sel:DWORD dst_unused:UNUSED_PAD src0_sel:DWORD src1_sel:BYTE_0
	global_load_dwordx4 v[60:63], v42, s[14:15]
	global_load_dwordx4 v[52:55], v42, s[14:15] offset:16
	v_add_u16_e32 v42, 0x42, v255
	v_mul_lo_u16_sdwa v40, v42, v40 dst_sel:DWORD dst_unused:UNUSED_PAD src0_sel:BYTE_0 src1_sel:DWORD
	v_lshrrev_b16_e32 v140, 9, v40
	v_mul_lo_u16_e32 v40, 9, v140
	v_sub_u16_e32 v141, v42, v40
	v_lshlrev_b32_sdwa v40, v41, v141 dst_sel:DWORD dst_unused:UNUSED_PAD src0_sel:DWORD src1_sel:BYTE_0
	global_load_dwordx4 v[64:67], v40, s[14:15]
	global_load_dwordx4 v[56:59], v40, s[14:15] offset:16
	ds_read_b128 v[40:43], v235 offset:1584
	ds_read_b128 v[44:47], v235
	ds_read_b128 v[68:71], v235 offset:528
	ds_read_b128 v[72:75], v235 offset:3168
	;; [unrolled: 1-line block ×7, first 2 shown]
	s_waitcnt vmcnt(0) lgkmcnt(0)
	s_barrier
	v_mul_f64 v[100:101], v[74:75], v[38:39]
	v_mul_f64 v[96:97], v[42:43], v[50:51]
	;; [unrolled: 1-line block ×5, first 2 shown]
	v_fma_f64 v[40:41], v[40:41], v[48:49], -v[96:97]
	v_fma_f64 v[42:43], v[42:43], v[48:49], v[98:99]
	v_fma_f64 v[72:73], v[72:73], v[36:37], -v[100:101]
	v_mul_f64 v[96:97], v[78:79], v[54:55]
	v_mul_f64 v[98:99], v[76:77], v[54:55]
	v_fma_f64 v[74:75], v[74:75], v[36:37], v[102:103]
	v_mul_f64 v[100:101], v[90:91], v[66:67]
	v_mul_f64 v[106:107], v[84:85], v[62:63]
	v_fma_f64 v[84:85], v[84:85], v[60:61], -v[104:105]
	v_mul_f64 v[102:103], v[88:89], v[66:67]
	v_mul_f64 v[104:105], v[94:95], v[58:59]
	v_fma_f64 v[76:77], v[76:77], v[52:53], -v[96:97]
	v_add_f64 v[96:97], v[40:41], v[72:73]
	v_fma_f64 v[78:79], v[78:79], v[52:53], v[98:99]
	v_mul_f64 v[98:99], v[92:93], v[58:59]
	v_fma_f64 v[88:89], v[88:89], v[64:65], -v[100:101]
	v_add_f64 v[100:101], v[42:43], v[74:75]
	v_fma_f64 v[86:87], v[86:87], v[60:61], v[106:107]
	v_add_f64 v[106:107], v[44:45], v[40:41]
	v_fma_f64 v[90:91], v[90:91], v[64:65], v[102:103]
	v_fma_f64 v[44:45], v[96:97], -0.5, v[44:45]
	v_add_f64 v[96:97], v[42:43], -v[74:75]
	v_fma_f64 v[94:95], v[94:95], v[56:57], v[98:99]
	v_add_f64 v[98:99], v[84:85], v[76:77]
	v_add_f64 v[42:43], v[46:47], v[42:43]
	v_fma_f64 v[92:93], v[92:93], v[56:57], -v[104:105]
	v_fma_f64 v[46:47], v[100:101], -0.5, v[46:47]
	v_add_f64 v[40:41], v[40:41], -v[72:73]
	v_add_f64 v[108:109], v[106:107], v[72:73]
	v_add_f64 v[72:73], v[68:69], v[84:85]
	v_fma_f64 v[100:101], v[96:97], s[0:1], v[44:45]
	v_fma_f64 v[68:69], v[98:99], -0.5, v[68:69]
	v_add_f64 v[98:99], v[86:87], -v[78:79]
	v_add_f64 v[110:111], v[42:43], v[74:75]
	v_add_f64 v[42:43], v[86:87], v[78:79]
	v_fma_f64 v[104:105], v[96:97], s[2:3], v[44:45]
	v_fma_f64 v[102:103], v[40:41], s[2:3], v[46:47]
	;; [unrolled: 1-line block ×3, first 2 shown]
	v_add_f64 v[40:41], v[88:89], v[92:93]
	v_add_f64 v[44:45], v[90:91], v[94:95]
	v_fma_f64 v[116:117], v[98:99], s[0:1], v[68:69]
	v_fma_f64 v[120:121], v[98:99], s[2:3], v[68:69]
	v_add_f64 v[46:47], v[70:71], v[86:87]
	v_fma_f64 v[42:43], v[42:43], -0.5, v[70:71]
	v_add_f64 v[68:69], v[84:85], -v[76:77]
	v_add_f64 v[112:113], v[72:73], v[76:77]
	v_add_f64 v[70:71], v[80:81], v[88:89]
	v_fma_f64 v[40:41], v[40:41], -0.5, v[80:81]
	v_add_f64 v[72:73], v[90:91], -v[94:95]
	v_add_f64 v[74:75], v[82:83], v[90:91]
	v_fma_f64 v[44:45], v[44:45], -0.5, v[82:83]
	v_add_f64 v[76:77], v[88:89], -v[92:93]
	v_add_f64 v[114:115], v[46:47], v[78:79]
	v_fma_f64 v[122:123], v[68:69], s[0:1], v[42:43]
	v_fma_f64 v[118:119], v[68:69], s[2:3], v[42:43]
	v_add_f64 v[124:125], v[70:71], v[92:93]
	v_fma_f64 v[128:129], v[72:73], s[0:1], v[40:41]
	v_fma_f64 v[132:133], v[72:73], s[2:3], v[40:41]
	;; [unrolled: 3-line block ×3, first 2 shown]
	v_mad_legacy_u16 v40, v136, 27, v137
	v_and_b32_e32 v40, 0xff, v40
	v_lshl_add_u32 v228, v40, 4, v227
	v_mul_u32_u24_e32 v40, 27, v138
	v_add_u32_sdwa v40, v40, v139 dst_sel:DWORD dst_unused:UNUSED_PAD src0_sel:DWORD src1_sel:BYTE_0
	v_lshl_add_u32 v40, v40, 4, v227
	ds_write_b128 v228, v[108:111]
	ds_write_b128 v228, v[100:103] offset:144
	ds_write_b128 v228, v[104:107] offset:288
	ds_write_b128 v40, v[112:115]
	ds_write_b128 v40, v[116:119] offset:144
	buffer_store_dword v40, off, s[44:47], 0 ; 4-byte Folded Spill
	ds_write_b128 v40, v[120:123] offset:288
	v_mul_u32_u24_e32 v40, 27, v140
	v_add_u32_sdwa v40, v40, v141 dst_sel:DWORD dst_unused:UNUSED_PAD src0_sel:DWORD src1_sel:BYTE_0
	v_lshl_add_u32 v236, v40, 4, v227
	v_cmp_gt_u16_e64 s[0:1], 27, v255
	ds_write_b128 v236, v[124:127]
	ds_write_b128 v236, v[128:131] offset:144
	ds_write_b128 v236, v[132:135] offset:288
	s_waitcnt vmcnt(0) lgkmcnt(0)
	s_barrier
	s_waitcnt lgkmcnt(0)
                                        ; implicit-def: $vgpr136_vgpr137
                                        ; implicit-def: $vgpr140_vgpr141
	s_and_saveexec_b64 s[2:3], s[0:1]
	s_cbranch_execz .LBB0_3
; %bb.2:
	ds_read_b128 v[108:111], v235
	ds_read_b128 v[100:103], v235 offset:432
	ds_read_b128 v[104:107], v235 offset:864
	;; [unrolled: 1-line block ×10, first 2 shown]
.LBB0_3:
	s_or_b64 exec, exec, s[2:3]
	v_subrev_u32_e32 v40, 27, v255
	v_cndmask_b32_e64 v40, v40, v255, s[0:1]
	v_mul_hi_i32_i24_e32 v41, 0xa0, v40
	v_mul_i32_i24_e32 v40, 0xa0, v40
	v_mov_b32_e32 v42, s15
	v_add_co_u32_e64 v80, s[2:3], s14, v40
	v_addc_co_u32_e64 v81, s[2:3], v42, v41, s[2:3]
	global_load_dwordx4 v[44:47], v[80:81], off offset:288
	global_load_dwordx4 v[40:43], v[80:81], off offset:304
	;; [unrolled: 1-line block ×9, first 2 shown]
	s_nop 0
	global_load_dwordx4 v[80:83], v[80:81], off offset:432
	s_mov_b32 s18, 0xf8bb580b
	s_mov_b32 s30, 0x8eee2c13
	;; [unrolled: 1-line block ×26, first 2 shown]
	s_waitcnt vmcnt(9) lgkmcnt(9)
	v_mul_f64 v[145:146], v[102:103], v[46:47]
	v_mul_f64 v[147:148], v[100:101], v[46:47]
	s_waitcnt vmcnt(8) lgkmcnt(8)
	v_mul_f64 v[149:150], v[106:107], v[42:43]
	s_waitcnt vmcnt(6) lgkmcnt(6)
	v_mul_f64 v[165:166], v[118:119], v[74:75]
	v_mul_f64 v[151:152], v[104:105], v[42:43]
	;; [unrolled: 1-line block ×3, first 2 shown]
	s_waitcnt vmcnt(3) lgkmcnt(3)
	v_mul_f64 v[177:178], v[130:131], v[90:91]
	v_mul_f64 v[163:164], v[112:113], v[70:71]
	s_waitcnt vmcnt(1) lgkmcnt(1)
	v_mul_f64 v[185:186], v[138:139], v[78:79]
	s_waitcnt vmcnt(0) lgkmcnt(0)
	v_mul_f64 v[189:190], v[142:143], v[82:83]
	v_mul_f64 v[191:192], v[140:141], v[82:83]
	;; [unrolled: 1-line block ×3, first 2 shown]
	v_fma_f64 v[155:156], v[100:101], v[44:45], -v[145:146]
	v_fma_f64 v[157:158], v[102:103], v[44:45], v[147:148]
	v_fma_f64 v[153:154], v[104:105], v[40:41], -v[149:150]
	v_fma_f64 v[149:150], v[116:117], v[72:73], -v[165:166]
	v_mul_f64 v[167:168], v[116:117], v[74:75]
	v_fma_f64 v[140:141], v[140:141], v[80:81], -v[189:190]
	v_fma_f64 v[165:166], v[142:143], v[80:81], v[191:192]
	v_mul_f64 v[171:172], v[120:121], v[98:99]
	v_mul_f64 v[173:174], v[126:127], v[94:95]
	;; [unrolled: 1-line block ×5, first 2 shown]
	v_fma_f64 v[159:160], v[106:107], v[40:41], v[151:152]
	v_fma_f64 v[142:143], v[128:129], v[88:89], -v[177:178]
	v_fma_f64 v[136:137], v[136:137], v[76:77], -v[185:186]
	v_fma_f64 v[138:139], v[138:139], v[76:77], v[187:188]
	v_add_f64 v[207:208], v[155:156], -v[140:141]
	v_add_f64 v[128:129], v[157:158], -v[165:166]
	v_mul_f64 v[169:170], v[122:123], v[98:99]
	v_mul_f64 v[175:176], v[124:125], v[94:95]
	v_fma_f64 v[151:152], v[112:113], v[68:69], -v[161:162]
	v_fma_f64 v[161:162], v[114:115], v[68:69], v[163:164]
	v_fma_f64 v[163:164], v[118:119], v[72:73], v[167:168]
	;; [unrolled: 1-line block ×3, first 2 shown]
	v_fma_f64 v[145:146], v[124:125], v[92:93], -v[173:174]
	v_fma_f64 v[171:172], v[130:131], v[88:89], v[179:180]
	v_fma_f64 v[132:133], v[132:133], v[84:85], -v[181:182]
	v_fma_f64 v[134:135], v[134:135], v[84:85], v[183:184]
	v_add_f64 v[181:182], v[155:156], v[140:141]
	v_add_f64 v[130:131], v[157:158], v[165:166]
	v_add_f64 v[213:214], v[153:154], -v[136:137]
	v_add_f64 v[251:252], v[159:160], -v[138:139]
	v_mul_f64 v[173:174], v[128:129], s[18:19]
	v_mul_f64 v[179:180], v[207:208], s[18:19]
	;; [unrolled: 1-line block ×4, first 2 shown]
	v_fma_f64 v[147:148], v[120:121], v[96:97], -v[169:170]
	v_fma_f64 v[169:170], v[126:127], v[92:93], v[175:176]
	v_add_f64 v[187:188], v[153:154], v[136:137]
	v_add_f64 v[245:246], v[159:160], v[138:139]
	v_add_f64 v[215:216], v[151:152], -v[132:133]
	v_add_f64 v[253:254], v[161:162], -v[134:135]
	v_mul_f64 v[175:176], v[251:252], s[30:31]
	v_mul_f64 v[185:186], v[213:214], s[30:31]
	;; [unrolled: 1-line block ×4, first 2 shown]
	v_fma_f64 v[100:101], v[181:182], s[6:7], v[173:174]
	v_fma_f64 v[102:103], v[130:131], s[6:7], -v[179:180]
	v_fma_f64 v[104:105], v[181:182], s[14:15], v[191:192]
	v_fma_f64 v[106:107], v[130:131], s[14:15], -v[203:204]
	v_add_f64 v[193:194], v[151:152], v[132:133]
	v_add_f64 v[243:244], v[161:162], v[134:135]
	v_add_f64 v[217:218], v[149:150], -v[142:143]
	v_add_f64 v[249:250], v[163:164], -v[171:172]
	v_mul_f64 v[177:178], v[253:254], s[24:25]
	v_mul_f64 v[189:190], v[215:216], s[24:25]
	;; [unrolled: 1-line block ×4, first 2 shown]
	v_fma_f64 v[112:113], v[187:188], s[14:15], v[175:176]
	v_fma_f64 v[114:115], v[245:246], s[14:15], -v[185:186]
	v_fma_f64 v[116:117], v[187:188], s[16:17], v[197:198]
	v_fma_f64 v[118:119], v[245:246], s[16:17], -v[205:206]
	v_add_f64 v[100:101], v[108:109], v[100:101]
	v_add_f64 v[102:103], v[110:111], v[102:103]
	;; [unrolled: 1-line block ×6, first 2 shown]
	v_add_f64 v[221:222], v[147:148], -v[145:146]
	v_add_f64 v[247:248], v[167:168], -v[169:170]
	v_mul_f64 v[183:184], v[249:250], s[26:27]
	v_mul_f64 v[195:196], v[217:218], s[26:27]
	;; [unrolled: 1-line block ×3, first 2 shown]
	v_fma_f64 v[120:121], v[193:194], s[20:21], v[177:178]
	v_fma_f64 v[122:123], v[243:244], s[20:21], -v[189:190]
	v_fma_f64 v[124:125], v[193:194], s[22:23], v[201:202]
	v_fma_f64 v[126:127], v[243:244], s[22:23], -v[209:210]
	v_add_f64 v[100:101], v[112:113], v[100:101]
	v_add_f64 v[102:103], v[114:115], v[102:103]
	;; [unrolled: 1-line block ×4, first 2 shown]
	v_mul_f64 v[223:224], v[217:218], s[34:35]
	v_fma_f64 v[112:113], v[199:200], s[16:17], v[183:184]
	v_fma_f64 v[114:115], v[241:242], s[16:17], -v[195:196]
	v_fma_f64 v[116:117], v[199:200], s[20:21], v[211:212]
	v_add_f64 v[100:101], v[120:121], v[100:101]
	v_add_f64 v[102:103], v[122:123], v[102:103]
	;; [unrolled: 1-line block ×4, first 2 shown]
	v_fma_f64 v[118:119], v[241:242], s[20:21], -v[223:224]
	v_add_f64 v[233:234], v[147:148], v[145:146]
	v_add_f64 v[237:238], v[167:168], v[169:170]
	v_mul_f64 v[219:220], v[247:248], s[38:39]
	v_mul_f64 v[225:226], v[221:222], s[38:39]
	;; [unrolled: 1-line block ×4, first 2 shown]
	v_add_f64 v[100:101], v[112:113], v[100:101]
	v_add_f64 v[102:103], v[114:115], v[102:103]
	;; [unrolled: 1-line block ×4, first 2 shown]
	v_fma_f64 v[104:105], v[233:234], s[22:23], v[219:220]
	v_fma_f64 v[106:107], v[237:238], s[22:23], -v[225:226]
	v_fma_f64 v[116:117], v[233:234], s[6:7], v[229:230]
	v_fma_f64 v[118:119], v[237:238], s[6:7], -v[239:240]
	v_add_f64 v[104:105], v[104:105], v[100:101]
	v_add_f64 v[106:107], v[106:107], v[102:103]
	;; [unrolled: 1-line block ×4, first 2 shown]
	s_and_saveexec_b64 s[2:3], s[0:1]
	s_cbranch_execz .LBB0_5
; %bb.4:
	v_mul_f64 v[112:113], v[181:182], s[6:7]
	v_mul_f64 v[124:125], v[245:246], s[6:7]
	;; [unrolled: 1-line block ×3, first 2 shown]
	s_mov_b32 s43, 0x3fe82f19
	s_mov_b32 s42, s26
	v_mul_f64 v[118:119], v[241:242], s[14:15]
	v_mul_f64 v[116:117], v[237:238], s[20:21]
	s_mov_b32 s37, 0x3fed1bb4
	buffer_store_dword v112, off, s[44:47], 0 offset:52 ; 4-byte Folded Spill
	s_nop 0
	buffer_store_dword v113, off, s[44:47], 0 offset:56 ; 4-byte Folded Spill
	v_mul_f64 v[112:113], v[130:131], s[6:7]
	v_fma_f64 v[126:127], v[213:214], s[18:19], v[124:125]
	v_fma_f64 v[122:123], v[215:216], s[42:43], v[120:121]
	s_mov_b32 s36, s30
	v_fma_f64 v[114:115], v[217:218], s[30:31], v[118:119]
	buffer_store_dword v112, off, s[44:47], 0 offset:76 ; 4-byte Folded Spill
	s_nop 0
	buffer_store_dword v113, off, s[44:47], 0 offset:80 ; 4-byte Folded Spill
	v_mul_f64 v[112:113], v[181:182], s[14:15]
	buffer_store_dword v112, off, s[44:47], 0 offset:116 ; 4-byte Folded Spill
	s_nop 0
	buffer_store_dword v113, off, s[44:47], 0 offset:120 ; 4-byte Folded Spill
	v_mul_f64 v[112:113], v[130:131], s[14:15]
	;; [unrolled: 4-line block ×18, first 2 shown]
	buffer_store_dword v112, off, s[44:47], 0 offset:204 ; 4-byte Folded Spill
	s_nop 0
	buffer_store_dword v113, off, s[44:47], 0 offset:208 ; 4-byte Folded Spill
	buffer_store_dword v227, off, s[44:47], 0 offset:4 ; 4-byte Folded Spill
	;; [unrolled: 1-line block ×3, first 2 shown]
	v_mul_f64 v[227:228], v[130:131], s[22:23]
	buffer_store_dword v173, off, s[44:47], 0 offset:212 ; 4-byte Folded Spill
	s_nop 0
	buffer_store_dword v174, off, s[44:47], 0 offset:216 ; 4-byte Folded Spill
	buffer_store_dword v191, off, s[44:47], 0 offset:244 ; 4-byte Folded Spill
	s_nop 0
	buffer_store_dword v192, off, s[44:47], 0 offset:248 ; 4-byte Folded Spill
	;; [unrolled: 3-line block ×7, first 2 shown]
	v_fma_f64 v[173:174], v[207:208], s[28:29], v[227:228]
	v_fma_f64 v[112:113], v[221:222], s[34:35], v[116:117]
	v_mul_f64 v[183:184], v[128:129], s[38:39]
	v_mul_f64 v[177:178], v[251:252], s[40:41]
	;; [unrolled: 1-line block ×3, first 2 shown]
	buffer_store_dword v189, off, s[44:47], 0 offset:260 ; 4-byte Folded Spill
	s_nop 0
	buffer_store_dword v190, off, s[44:47], 0 offset:264 ; 4-byte Folded Spill
	v_add_f64 v[173:174], v[110:111], v[173:174]
	v_fma_f64 v[179:180], v[187:188], s[6:7], v[177:178]
	v_fma_f64 v[140:141], v[193:194], s[16:17], v[175:176]
	v_add_f64 v[126:127], v[126:127], v[173:174]
	v_add_f64 v[122:123], v[122:123], v[126:127]
	v_mul_f64 v[126:127], v[249:250], s[36:37]
	v_add_f64 v[114:115], v[114:115], v[122:123]
	v_mul_f64 v[122:123], v[247:248], s[24:25]
	v_fma_f64 v[173:174], v[199:200], s[14:15], v[126:127]
	v_add_f64 v[191:192], v[112:113], v[114:115]
	v_fma_f64 v[114:115], v[181:182], s[22:23], v[183:184]
	v_fma_f64 v[112:113], v[233:234], s[20:21], v[122:123]
	v_add_f64 v[114:115], v[108:109], v[114:115]
	v_add_f64 v[114:115], v[179:180], v[114:115]
	v_mul_f64 v[179:180], v[253:254], s[18:19]
	v_add_f64 v[114:115], v[140:141], v[114:115]
	v_mul_f64 v[140:141], v[245:246], s[20:21]
	v_add_f64 v[114:115], v[173:174], v[114:115]
	v_fma_f64 v[173:174], v[213:214], s[24:25], v[140:141]
	v_add_f64 v[189:190], v[112:113], v[114:115]
	v_fma_f64 v[112:113], v[221:222], s[24:25], v[116:117]
	v_fma_f64 v[116:117], v[215:216], s[26:27], v[120:121]
	;; [unrolled: 1-line block ×5, first 2 shown]
	buffer_store_dword v189, off, s[44:47], 0 offset:20 ; 4-byte Folded Spill
	s_nop 0
	buffer_store_dword v190, off, s[44:47], 0 offset:24 ; 4-byte Folded Spill
	buffer_store_dword v191, off, s[44:47], 0 offset:28 ; 4-byte Folded Spill
	;; [unrolled: 1-line block ×3, first 2 shown]
	v_mul_f64 v[189:190], v[128:129], s[26:27]
	v_mul_f64 v[124:125], v[241:242], s[22:23]
	v_add_f64 v[120:121], v[110:111], v[120:121]
	v_mul_f64 v[227:228], v[251:252], s[34:35]
	v_add_f64 v[118:119], v[118:119], v[120:121]
	v_fma_f64 v[120:121], v[187:188], s[6:7], -v[177:178]
	v_add_f64 v[116:117], v[116:117], v[118:119]
	v_add_f64 v[114:115], v[114:115], v[116:117]
	v_fma_f64 v[116:117], v[193:194], s[16:17], -v[175:176]
	v_mul_f64 v[175:176], v[130:131], s[16:17]
	v_add_f64 v[118:119], v[112:113], v[114:115]
	v_fma_f64 v[112:113], v[233:234], s[20:21], -v[122:123]
	v_fma_f64 v[122:123], v[181:182], s[22:23], -v[183:184]
	;; [unrolled: 1-line block ×3, first 2 shown]
	v_fma_f64 v[177:178], v[207:208], s[42:43], v[175:176]
	v_mul_f64 v[126:127], v[243:244], s[6:7]
	v_fma_f64 v[183:184], v[193:194], s[6:7], v[179:180]
	v_add_f64 v[122:123], v[108:109], v[122:123]
	v_add_f64 v[177:178], v[110:111], v[177:178]
	;; [unrolled: 1-line block ×3, first 2 shown]
	v_fma_f64 v[122:123], v[215:216], s[40:41], v[126:127]
	v_add_f64 v[173:174], v[173:174], v[177:178]
	v_add_f64 v[116:117], v[116:117], v[120:121]
	v_fma_f64 v[120:121], v[217:218], s[28:29], v[124:125]
	v_add_f64 v[122:123], v[122:123], v[173:174]
	v_mul_f64 v[173:174], v[249:250], s[38:39]
	v_add_f64 v[114:115], v[114:115], v[116:117]
	v_add_f64 v[120:121], v[120:121], v[122:123]
	v_fma_f64 v[177:178], v[199:200], s[22:23], v[173:174]
	v_add_f64 v[116:117], v[112:113], v[114:115]
	buffer_store_dword v116, off, s[44:47], 0 offset:36 ; 4-byte Folded Spill
	s_nop 0
	buffer_store_dword v117, off, s[44:47], 0 offset:40 ; 4-byte Folded Spill
	buffer_store_dword v118, off, s[44:47], 0 offset:44 ; 4-byte Folded Spill
	;; [unrolled: 1-line block ×3, first 2 shown]
	v_fma_f64 v[116:117], v[181:182], s[16:17], v[189:190]
	buffer_store_dword v185, off, s[44:47], 0 offset:268 ; 4-byte Folded Spill
	s_nop 0
	buffer_store_dword v186, off, s[44:47], 0 offset:272 ; 4-byte Folded Spill
	v_mul_f64 v[112:113], v[237:238], s[14:15]
	v_fma_f64 v[185:186], v[187:188], s[20:21], v[227:228]
	v_fma_f64 v[118:119], v[215:216], s[18:19], v[126:127]
	;; [unrolled: 1-line block ×3, first 2 shown]
	v_mul_f64 v[175:176], v[245:246], s[22:23]
	v_add_f64 v[116:117], v[108:109], v[116:117]
	v_fma_f64 v[114:115], v[221:222], s[30:31], v[112:113]
	v_fma_f64 v[112:113], v[221:222], s[36:37], v[112:113]
	v_add_f64 v[126:127], v[110:111], v[126:127]
	v_add_f64 v[116:117], v[185:186], v[116:117]
	;; [unrolled: 1-line block ×3, first 2 shown]
	v_mul_f64 v[114:115], v[247:248], s[36:37]
	v_add_f64 v[116:117], v[183:184], v[116:117]
	v_mul_f64 v[183:184], v[253:254], s[36:37]
	v_fma_f64 v[120:121], v[233:234], s[14:15], v[114:115]
	v_add_f64 v[116:117], v[177:178], v[116:117]
	v_fma_f64 v[177:178], v[213:214], s[38:39], v[175:176]
	v_fma_f64 v[185:186], v[193:194], s[14:15], v[183:184]
	v_add_f64 v[120:121], v[120:121], v[116:117]
	v_fma_f64 v[116:117], v[217:218], s[38:39], v[124:125]
	v_fma_f64 v[124:125], v[213:214], s[34:35], v[140:141]
	v_mul_f64 v[140:141], v[243:244], s[14:15]
	v_add_f64 v[124:125], v[124:125], v[126:127]
	v_add_f64 v[118:119], v[118:119], v[124:125]
	v_fma_f64 v[124:125], v[181:182], s[16:17], -v[189:190]
	v_mul_f64 v[189:190], v[251:252], s[28:29]
	v_add_f64 v[116:117], v[116:117], v[118:119]
	v_fma_f64 v[118:119], v[187:188], s[20:21], -v[227:228]
	v_add_f64 v[124:125], v[108:109], v[124:125]
	v_fma_f64 v[227:228], v[187:188], s[22:23], v[189:190]
	v_add_f64 v[126:127], v[112:113], v[116:117]
	v_fma_f64 v[116:117], v[193:194], s[6:7], -v[179:180]
	v_add_f64 v[118:119], v[118:119], v[124:125]
	v_fma_f64 v[112:113], v[233:234], s[14:15], -v[114:115]
	v_fma_f64 v[114:115], v[199:200], s[22:23], -v[173:174]
	v_mul_f64 v[179:180], v[130:131], s[20:21]
	v_fma_f64 v[173:174], v[215:216], s[30:31], v[140:141]
	v_add_f64 v[116:117], v[116:117], v[118:119]
	v_fma_f64 v[130:131], v[207:208], s[34:35], v[179:180]
	v_add_f64 v[114:115], v[114:115], v[116:117]
	v_mul_f64 v[116:117], v[241:242], s[6:7]
	v_add_f64 v[130:131], v[110:111], v[130:131]
	v_add_f64 v[124:125], v[112:113], v[114:115]
	v_mul_f64 v[112:113], v[237:238], s[16:17]
	v_mul_f64 v[237:238], v[128:129], s[24:25]
	v_add_f64 v[130:131], v[177:178], v[130:131]
	v_fma_f64 v[118:119], v[217:218], s[40:41], v[116:117]
	v_fma_f64 v[116:117], v[217:218], s[18:19], v[116:117]
	;; [unrolled: 1-line block ×4, first 2 shown]
	v_add_f64 v[130:131], v[173:174], v[130:131]
	v_mul_f64 v[173:174], v[249:250], s[18:19]
	v_fma_f64 v[112:113], v[221:222], s[26:27], v[112:113]
	v_add_f64 v[128:129], v[108:109], v[128:129]
	v_add_f64 v[118:119], v[118:119], v[130:131]
	v_fma_f64 v[177:178], v[199:200], s[6:7], v[173:174]
	v_add_f64 v[128:129], v[227:228], v[128:129]
	v_add_f64 v[130:131], v[114:115], v[118:119]
	v_mul_f64 v[114:115], v[247:248], s[26:27]
	buffer_load_dword v228, off, s[44:47], 0 offset:8 ; 4-byte Folded Reload
	buffer_load_dword v227, off, s[44:47], 0 offset:4 ; 4-byte Folded Reload
	v_add_f64 v[128:129], v[185:186], v[128:129]
	v_fma_f64 v[118:119], v[233:234], s[16:17], v[114:115]
	v_add_f64 v[128:129], v[177:178], v[128:129]
	v_add_f64 v[128:129], v[118:119], v[128:129]
	v_fma_f64 v[118:119], v[215:216], s[36:37], v[140:141]
	v_fma_f64 v[140:141], v[213:214], s[28:29], v[175:176]
	;; [unrolled: 1-line block ×3, first 2 shown]
	v_add_f64 v[175:176], v[110:111], v[175:176]
	v_add_f64 v[140:141], v[140:141], v[175:176]
	;; [unrolled: 1-line block ×3, first 2 shown]
	v_fma_f64 v[140:141], v[181:182], s[20:21], -v[237:238]
	v_add_f64 v[116:117], v[116:117], v[118:119]
	v_fma_f64 v[118:119], v[187:188], s[22:23], -v[189:190]
	v_add_f64 v[140:141], v[108:109], v[140:141]
	v_add_f64 v[215:216], v[112:113], v[116:117]
	v_fma_f64 v[116:117], v[193:194], s[14:15], -v[183:184]
	v_add_f64 v[118:119], v[118:119], v[140:141]
	v_fma_f64 v[112:113], v[233:234], s[16:17], -v[114:115]
	v_fma_f64 v[114:115], v[199:200], s[6:7], -v[173:174]
	v_add_f64 v[116:117], v[116:117], v[118:119]
	v_add_f64 v[114:115], v[114:115], v[116:117]
	;; [unrolled: 1-line block ×3, first 2 shown]
	buffer_load_dword v112, off, s[44:47], 0 offset:204 ; 4-byte Folded Reload
	buffer_load_dword v113, off, s[44:47], 0 offset:208 ; 4-byte Folded Reload
	buffer_load_dword v114, off, s[44:47], 0 offset:196 ; 4-byte Folded Reload
	buffer_load_dword v115, off, s[44:47], 0 offset:200 ; 4-byte Folded Reload
	buffer_load_dword v116, off, s[44:47], 0 offset:188 ; 4-byte Folded Reload
	buffer_load_dword v117, off, s[44:47], 0 offset:192 ; 4-byte Folded Reload
	buffer_load_dword v118, off, s[44:47], 0 offset:172 ; 4-byte Folded Reload
	buffer_load_dword v119, off, s[44:47], 0 offset:176 ; 4-byte Folded Reload
	buffer_load_dword v140, off, s[44:47], 0 offset:156 ; 4-byte Folded Reload
	buffer_load_dword v141, off, s[44:47], 0 offset:160 ; 4-byte Folded Reload
	s_waitcnt vmcnt(8)
	v_add_f64 v[112:113], v[239:240], v[112:113]
	s_waitcnt vmcnt(6)
	v_add_f64 v[114:115], v[223:224], v[114:115]
	;; [unrolled: 2-line block ×5, first 2 shown]
	v_add_f64 v[140:141], v[110:111], v[140:141]
	v_add_f64 v[118:119], v[118:119], v[140:141]
	;; [unrolled: 1-line block ×5, first 2 shown]
	buffer_load_dword v112, off, s[44:47], 0 offset:180 ; 4-byte Folded Reload
	buffer_load_dword v113, off, s[44:47], 0 offset:184 ; 4-byte Folded Reload
	;; [unrolled: 1-line block ×12, first 2 shown]
	s_waitcnt vmcnt(10)
	v_add_f64 v[112:113], v[112:113], -v[229:230]
	s_waitcnt vmcnt(8)
	v_add_f64 v[114:115], v[114:115], -v[211:212]
	;; [unrolled: 2-line block ×5, first 2 shown]
	v_add_f64 v[140:141], v[108:109], v[140:141]
	v_add_f64 v[118:119], v[118:119], v[140:141]
	;; [unrolled: 1-line block ×5, first 2 shown]
	buffer_load_dword v112, off, s[44:47], 0 offset:140 ; 4-byte Folded Reload
	buffer_load_dword v113, off, s[44:47], 0 offset:144 ; 4-byte Folded Reload
	;; [unrolled: 1-line block ×8, first 2 shown]
	s_waitcnt vmcnt(6)
	v_add_f64 v[112:113], v[225:226], v[112:113]
	s_waitcnt vmcnt(4)
	v_add_f64 v[114:115], v[195:196], v[114:115]
	;; [unrolled: 2-line block ×3, first 2 shown]
	buffer_load_dword v118, off, s[44:47], 0 offset:92 ; 4-byte Folded Reload
	buffer_load_dword v119, off, s[44:47], 0 offset:96 ; 4-byte Folded Reload
	;; [unrolled: 1-line block ×4, first 2 shown]
	s_waitcnt vmcnt(0)
	v_add_f64 v[118:119], v[140:141], v[118:119]
	buffer_load_dword v140, off, s[44:47], 0 offset:76 ; 4-byte Folded Reload
	buffer_load_dword v141, off, s[44:47], 0 offset:80 ; 4-byte Folded Reload
	;; [unrolled: 1-line block ×4, first 2 shown]
	s_waitcnt vmcnt(0)
	v_add_f64 v[140:141], v[173:174], v[140:141]
	v_add_f64 v[140:141], v[110:111], v[140:141]
	;; [unrolled: 1-line block ×10, first 2 shown]
	buffer_load_dword v112, off, s[44:47], 0 offset:100 ; 4-byte Folded Reload
	buffer_load_dword v113, off, s[44:47], 0 offset:104 ; 4-byte Folded Reload
	buffer_load_dword v114, off, s[44:47], 0 offset:84 ; 4-byte Folded Reload
	buffer_load_dword v115, off, s[44:47], 0 offset:88 ; 4-byte Folded Reload
	buffer_load_dword v116, off, s[44:47], 0 offset:252 ; 4-byte Folded Reload
	buffer_load_dword v117, off, s[44:47], 0 offset:256 ; 4-byte Folded Reload
	v_add_f64 v[110:111], v[110:111], v[167:168]
	v_add_f64 v[110:111], v[110:111], v[169:170]
	;; [unrolled: 1-line block ×6, first 2 shown]
	s_waitcnt vmcnt(4)
	v_add_f64 v[112:113], v[112:113], -v[219:220]
	s_waitcnt vmcnt(0)
	v_add_f64 v[114:115], v[114:115], -v[116:117]
	buffer_load_dword v116, off, s[44:47], 0 offset:68 ; 4-byte Folded Reload
	buffer_load_dword v117, off, s[44:47], 0 offset:72 ; 4-byte Folded Reload
	buffer_load_dword v118, off, s[44:47], 0 offset:228 ; 4-byte Folded Reload
	buffer_load_dword v119, off, s[44:47], 0 offset:232 ; 4-byte Folded Reload
	s_waitcnt vmcnt(0)
	v_add_f64 v[116:117], v[116:117], -v[118:119]
	buffer_load_dword v118, off, s[44:47], 0 offset:60 ; 4-byte Folded Reload
	buffer_load_dword v119, off, s[44:47], 0 offset:64 ; 4-byte Folded Reload
	buffer_load_dword v140, off, s[44:47], 0 offset:220 ; 4-byte Folded Reload
	buffer_load_dword v141, off, s[44:47], 0 offset:224 ; 4-byte Folded Reload
	;; [unrolled: 6-line block ×3, first 2 shown]
	s_waitcnt vmcnt(0)
	v_add_f64 v[140:141], v[140:141], -v[173:174]
	v_add_f64 v[140:141], v[108:109], v[140:141]
	v_add_f64 v[108:109], v[108:109], v[155:156]
	;; [unrolled: 1-line block ×9, first 2 shown]
	buffer_load_dword v112, off, s[44:47], 0 offset:12 ; 4-byte Folded Reload
	buffer_load_dword v113, off, s[44:47], 0 offset:16 ; 4-byte Folded Reload
	v_add_f64 v[108:109], v[108:109], v[147:148]
	v_add_f64 v[108:109], v[108:109], v[145:146]
	;; [unrolled: 1-line block ×5, first 2 shown]
	s_waitcnt vmcnt(0)
	v_add_f64 v[108:109], v[108:109], v[112:113]
	ds_write_b128 v235, v[108:111]
	v_lshl_add_u32 v108, v255, 4, v227
	ds_write_b128 v108, v[177:180] offset:432
	ds_write_b128 v108, v[191:194] offset:864
	;; [unrolled: 1-line block ×4, first 2 shown]
	buffer_load_dword v109, off, s[44:47], 0 offset:36 ; 4-byte Folded Reload
	buffer_load_dword v110, off, s[44:47], 0 offset:40 ; 4-byte Folded Reload
	;; [unrolled: 1-line block ×4, first 2 shown]
	s_waitcnt vmcnt(0)
	ds_write_b128 v108, v[109:112] offset:2160
	buffer_load_dword v109, off, s[44:47], 0 offset:20 ; 4-byte Folded Reload
	buffer_load_dword v110, off, s[44:47], 0 offset:24 ; 4-byte Folded Reload
	;; [unrolled: 1-line block ×4, first 2 shown]
	s_waitcnt vmcnt(0)
	ds_write_b128 v108, v[109:112] offset:2592
	ds_write_b128 v108, v[120:123] offset:3024
	;; [unrolled: 1-line block ×5, first 2 shown]
.LBB0_5:
	s_or_b64 exec, exec, s[2:3]
	v_mov_b32_e32 v108, s13
	v_addc_co_u32_e32 v137, vcc, 0, v108, vcc
	s_movk_i32 s2, 0x1290
	v_add_co_u32_e32 v140, vcc, s2, v231
	v_addc_co_u32_e32 v141, vcc, 0, v137, vcc
	s_movk_i32 s2, 0x1000
	v_add_co_u32_e32 v136, vcc, s2, v231
	s_movk_i32 s2, 0x2000
	v_add_co_u32_e64 v132, s[2:3], s2, v231
	s_waitcnt lgkmcnt(0)
	s_barrier
	global_load_dwordx4 v[108:111], v[140:141], off offset:528
	global_load_dwordx4 v[112:115], v[140:141], off offset:1056
	;; [unrolled: 1-line block ×6, first 2 shown]
	v_addc_co_u32_e64 v133, s[2:3], 0, v137, s[2:3]
	global_load_dwordx4 v[132:135], v[132:133], off offset:784
	v_addc_co_u32_e32 v137, vcc, 0, v137, vcc
	global_load_dwordx4 v[136:139], v[136:137], off offset:656
	s_nop 0
	global_load_dwordx4 v[140:143], v[140:141], off offset:3696
	ds_read_b128 v[145:148], v235
	ds_read_b128 v[149:152], v235 offset:528
	ds_read_b128 v[153:156], v235 offset:1056
	ds_read_b128 v[157:160], v235 offset:1584
	ds_read_b128 v[161:164], v235 offset:2112
	ds_read_b128 v[165:168], v235 offset:2640
	ds_read_b128 v[169:172], v235 offset:3168
	ds_read_b128 v[173:176], v235 offset:3696
	ds_read_b128 v[177:180], v235 offset:4224
	s_mov_b32 s13, 0x3fe491b7
	s_mov_b32 s12, 0x523c161c
	;; [unrolled: 1-line block ×16, first 2 shown]
	s_waitcnt vmcnt(8) lgkmcnt(7)
	v_mul_f64 v[181:182], v[151:152], v[110:111]
	v_mul_f64 v[110:111], v[149:150], v[110:111]
	s_waitcnt vmcnt(7) lgkmcnt(6)
	v_mul_f64 v[183:184], v[155:156], v[114:115]
	v_mul_f64 v[114:115], v[153:154], v[114:115]
	;; [unrolled: 3-line block ×7, first 2 shown]
	s_waitcnt vmcnt(1)
	v_mul_f64 v[195:196], v[147:148], v[138:139]
	v_mul_f64 v[138:139], v[145:146], v[138:139]
	s_waitcnt vmcnt(0)
	v_mul_f64 v[197:198], v[175:176], v[142:143]
	v_mul_f64 v[142:143], v[173:174], v[142:143]
	v_fma_f64 v[149:150], v[149:150], v[108:109], -v[181:182]
	v_fma_f64 v[151:152], v[151:152], v[108:109], v[110:111]
	v_fma_f64 v[108:109], v[153:154], v[112:113], -v[183:184]
	v_fma_f64 v[110:111], v[155:156], v[112:113], v[114:115]
	;; [unrolled: 2-line block ×9, first 2 shown]
	ds_write_b128 v235, v[149:152] offset:528
	ds_write_b128 v235, v[108:111] offset:1056
	ds_write_b128 v235, v[112:115] offset:1584
	ds_write_b128 v235, v[116:119] offset:2112
	ds_write_b128 v235, v[120:123] offset:2640
	ds_write_b128 v235, v[124:127] offset:3168
	ds_write_b128 v235, v[128:131] offset:4224
	ds_write_b128 v235, v[132:135]
	ds_write_b128 v235, v[136:139] offset:3696
	s_waitcnt lgkmcnt(0)
	s_barrier
	ds_read_b128 v[108:111], v235
	ds_read_b128 v[112:115], v235 offset:528
	ds_read_b128 v[116:119], v235 offset:4224
	;; [unrolled: 1-line block ×8, first 2 shown]
	s_waitcnt lgkmcnt(6)
	v_add_f64 v[145:146], v[112:113], -v[116:117]
	v_add_f64 v[147:148], v[114:115], -v[118:119]
	s_waitcnt lgkmcnt(3)
	v_add_f64 v[149:150], v[128:129], -v[124:125]
	v_add_f64 v[151:152], v[130:131], -v[126:127]
	v_add_f64 v[157:158], v[112:113], v[116:117]
	v_add_f64 v[159:160], v[114:115], v[118:119]
	s_waitcnt lgkmcnt(2)
	v_add_f64 v[161:162], v[132:133], -v[120:121]
	v_add_f64 v[163:164], v[134:135], -v[122:123]
	v_mul_f64 v[153:154], v[145:146], s[12:13]
	v_mul_f64 v[155:156], v[147:148], s[12:13]
	v_add_f64 v[124:125], v[128:129], v[124:125]
	v_add_f64 v[126:127], v[130:131], v[126:127]
	s_waitcnt lgkmcnt(0)
	v_add_f64 v[128:129], v[136:137], -v[140:141]
	v_add_f64 v[130:131], v[138:139], -v[142:143]
	v_fma_f64 v[116:117], v[157:158], s[20:21], v[108:109]
	v_fma_f64 v[118:119], v[159:160], s[20:21], v[110:111]
	;; [unrolled: 1-line block ×4, first 2 shown]
	v_add_f64 v[153:154], v[136:137], v[140:141]
	v_add_f64 v[155:156], v[138:139], v[142:143]
	s_mov_b32 s13, 0xbfe491b7
	v_add_f64 v[132:133], v[132:133], v[120:121]
	v_add_f64 v[134:135], v[134:135], v[122:123]
	v_fma_f64 v[116:117], v[124:125], s[18:19], v[116:117]
	v_fma_f64 v[112:113], v[161:162], s[2:3], v[112:113]
	v_fma_f64 v[114:115], v[163:164], s[2:3], v[114:115]
	v_fma_f64 v[118:119], v[126:127], s[18:19], v[118:119]
	v_fma_f64 v[165:166], v[153:154], s[20:21], v[108:109]
	v_fma_f64 v[167:168], v[155:156], s[20:21], v[110:111]
	v_add_f64 v[173:174], v[128:129], v[145:146]
	v_add_f64 v[175:176], v[130:131], v[147:148]
	v_fma_f64 v[116:117], v[132:133], -0.5, v[116:117]
	v_fma_f64 v[120:121], v[128:129], s[16:17], v[112:113]
	v_fma_f64 v[122:123], v[130:131], s[16:17], v[114:115]
	v_mul_f64 v[112:113], v[128:129], s[12:13]
	v_mul_f64 v[114:115], v[130:131], s[12:13]
	v_fma_f64 v[118:119], v[134:135], -0.5, v[118:119]
	v_fma_f64 v[165:166], v[157:158], s[18:19], v[165:166]
	v_fma_f64 v[167:168], v[159:160], s[18:19], v[167:168]
	;; [unrolled: 1-line block ×3, first 2 shown]
	v_mul_f64 v[128:129], v[128:129], s[14:15]
	v_mul_f64 v[130:131], v[130:131], s[14:15]
	v_fma_f64 v[112:113], v[145:146], s[14:15], v[112:113]
	v_fma_f64 v[114:115], v[147:148], s[14:15], v[114:115]
	;; [unrolled: 1-line block ×3, first 2 shown]
	v_fma_f64 v[165:166], v[132:133], -0.5, v[165:166]
	v_fma_f64 v[167:168], v[134:135], -0.5, v[167:168]
	v_add_f64 v[177:178], v[108:109], v[132:133]
	v_fma_f64 v[128:129], v[149:150], s[12:13], -v[128:129]
	v_fma_f64 v[130:131], v[151:152], s[12:13], -v[130:131]
	v_fma_f64 v[169:170], v[161:162], s[6:7], v[112:113]
	v_fma_f64 v[171:172], v[163:164], s[6:7], v[114:115]
	v_add_f64 v[112:113], v[116:117], -v[122:123]
	v_add_f64 v[114:115], v[120:121], v[118:119]
	v_fma_f64 v[165:166], v[124:125], s[22:23], v[165:166]
	v_fma_f64 v[167:168], v[126:127], s[22:23], v[167:168]
	v_add_f64 v[179:180], v[110:111], v[134:135]
	v_fma_f64 v[128:129], v[161:162], s[2:3], v[128:129]
	v_fma_f64 v[169:170], v[149:150], s[16:17], v[169:170]
	;; [unrolled: 1-line block ×3, first 2 shown]
	v_fma_f64 v[116:117], v[122:123], 2.0, v[112:113]
	v_fma_f64 v[118:119], v[120:121], -2.0, v[114:115]
	v_fma_f64 v[130:131], v[163:164], s[2:3], v[130:131]
	s_barrier
	v_fma_f64 v[145:146], v[145:146], s[16:17], v[128:129]
	v_add_f64 v[122:123], v[169:170], v[167:168]
	v_add_f64 v[120:121], v[165:166], -v[171:172]
	v_add_f64 v[165:166], v[173:174], -v[149:150]
	;; [unrolled: 1-line block ×3, first 2 shown]
	v_fma_f64 v[173:174], v[124:125], s[20:21], v[108:109]
	v_fma_f64 v[175:176], v[126:127], s[20:21], v[110:111]
	v_add_f64 v[124:125], v[124:125], v[157:158]
	v_add_f64 v[126:127], v[126:127], v[159:160]
	v_fma_f64 v[147:148], v[147:148], s[16:17], v[130:131]
	v_fma_f64 v[149:150], v[153:154], s[18:19], v[173:174]
	;; [unrolled: 1-line block ×3, first 2 shown]
	v_add_f64 v[153:154], v[153:154], v[124:125]
	v_add_f64 v[155:156], v[155:156], v[126:127]
	;; [unrolled: 1-line block ×4, first 2 shown]
	v_fma_f64 v[132:133], v[132:133], -0.5, v[149:150]
	v_fma_f64 v[134:135], v[134:135], -0.5, v[151:152]
	;; [unrolled: 1-line block ×4, first 2 shown]
	v_add_f64 v[124:125], v[136:137], v[124:125]
	v_add_f64 v[126:127], v[138:139], v[126:127]
	v_mul_f64 v[138:139], v[165:166], s[2:3]
	v_mul_f64 v[136:137], v[167:168], s[2:3]
	v_fma_f64 v[128:129], v[157:158], s[22:23], v[132:133]
	v_fma_f64 v[130:131], v[159:160], s[22:23], v[134:135]
	v_fma_f64 v[132:133], v[171:172], 2.0, v[120:121]
	v_fma_f64 v[134:135], v[169:170], -2.0, v[122:123]
	v_add_f64 v[140:141], v[140:141], v[124:125]
	v_add_f64 v[142:143], v[142:143], v[126:127]
	v_fma_f64 v[124:125], v[167:168], s[6:7], v[149:150]
	v_fma_f64 v[126:127], v[165:166], s[2:3], v[151:152]
	v_add_f64 v[128:129], v[128:129], -v[147:148]
	v_add_f64 v[130:131], v[145:146], v[130:131]
	s_mov_b32 s6, 0xe8584caa
	s_mov_b32 s2, s6
	v_add_f64 v[108:109], v[108:109], v[140:141]
	v_add_f64 v[110:111], v[110:111], v[142:143]
	v_fma_f64 v[136:137], v[136:137], 2.0, v[124:125]
	v_fma_f64 v[138:139], v[138:139], -2.0, v[126:127]
	v_fma_f64 v[140:141], v[147:148], 2.0, v[128:129]
	v_fma_f64 v[142:143], v[145:146], -2.0, v[130:131]
	ds_write_b128 v232, v[108:111]
	ds_write_b128 v232, v[112:115] offset:16
	ds_write_b128 v232, v[120:123] offset:32
	;; [unrolled: 1-line block ×8, first 2 shown]
	s_waitcnt lgkmcnt(0)
	s_barrier
	ds_read_b128 v[108:111], v235 offset:1584
	ds_read_b128 v[112:115], v235
	ds_read_b128 v[116:119], v235 offset:528
	ds_read_b128 v[120:123], v235 offset:3168
	ds_read_b128 v[124:127], v235 offset:3696
	ds_read_b128 v[128:131], v235 offset:1056
	s_waitcnt lgkmcnt(5)
	v_mul_f64 v[145:146], v[50:51], v[110:111]
	v_mul_f64 v[50:51], v[50:51], v[108:109]
	s_waitcnt lgkmcnt(2)
	v_mul_f64 v[147:148], v[38:39], v[122:123]
	v_mul_f64 v[38:39], v[38:39], v[120:121]
	ds_read_b128 v[132:135], v235 offset:2112
	ds_read_b128 v[136:139], v235 offset:2640
	;; [unrolled: 1-line block ×3, first 2 shown]
	s_waitcnt lgkmcnt(0)
	v_fma_f64 v[108:109], v[48:49], v[108:109], v[145:146]
	v_mul_f64 v[149:150], v[62:63], v[134:135]
	v_mul_f64 v[62:63], v[62:63], v[132:133]
	v_fma_f64 v[48:49], v[48:49], v[110:111], -v[50:51]
	v_fma_f64 v[50:51], v[36:37], v[120:121], v[147:148]
	v_mul_f64 v[110:111], v[54:55], v[126:127]
	v_fma_f64 v[38:39], v[36:37], v[122:123], -v[38:39]
	v_mul_f64 v[36:37], v[54:55], v[124:125]
	v_mul_f64 v[54:55], v[66:67], v[138:139]
	v_fma_f64 v[120:121], v[60:61], v[132:133], v[149:150]
	v_fma_f64 v[62:63], v[60:61], v[134:135], -v[62:63]
	v_mul_f64 v[60:61], v[66:67], v[136:137]
	v_mul_f64 v[66:67], v[58:59], v[142:143]
	v_fma_f64 v[110:111], v[52:53], v[124:125], v[110:111]
	v_add_f64 v[122:123], v[108:109], v[50:51]
	v_fma_f64 v[124:125], v[52:53], v[126:127], -v[36:37]
	v_mul_f64 v[36:37], v[58:59], v[140:141]
	v_add_f64 v[52:53], v[112:113], v[108:109]
	v_fma_f64 v[58:59], v[64:65], v[136:137], v[54:55]
	v_add_f64 v[54:55], v[48:49], v[38:39]
	v_fma_f64 v[126:127], v[64:65], v[138:139], -v[60:61]
	v_fma_f64 v[132:133], v[56:57], v[140:141], v[66:67]
	v_fma_f64 v[60:61], v[122:123], -0.5, v[112:113]
	v_add_f64 v[66:67], v[108:109], -v[50:51]
	v_fma_f64 v[122:123], v[56:57], v[142:143], -v[36:37]
	v_add_f64 v[36:37], v[52:53], v[50:51]
	v_add_f64 v[52:53], v[120:121], v[110:111]
	v_fma_f64 v[54:55], v[54:55], -0.5, v[114:115]
	v_add_f64 v[56:57], v[114:115], v[48:49]
	v_add_f64 v[64:65], v[48:49], -v[38:39]
	v_add_f64 v[108:109], v[116:117], v[120:121]
	v_add_f64 v[114:115], v[62:63], -v[124:125]
	s_barrier
	v_fma_f64 v[112:113], v[52:53], -0.5, v[116:117]
	v_fma_f64 v[50:51], v[66:67], s[2:3], v[54:55]
	v_add_f64 v[116:117], v[62:63], v[124:125]
	v_fma_f64 v[54:55], v[66:67], s[6:7], v[54:55]
	v_add_f64 v[66:67], v[58:59], v[132:133]
	v_add_f64 v[38:39], v[56:57], v[38:39]
	v_fma_f64 v[48:49], v[64:65], s[6:7], v[60:61]
	v_fma_f64 v[52:53], v[64:65], s[2:3], v[60:61]
	v_add_f64 v[56:57], v[108:109], v[110:111]
	v_fma_f64 v[60:61], v[114:115], s[6:7], v[112:113]
	v_fma_f64 v[64:65], v[114:115], s[2:3], v[112:113]
	v_add_f64 v[108:109], v[126:127], v[122:123]
	v_add_f64 v[62:63], v[118:119], v[62:63]
	v_fma_f64 v[112:113], v[116:117], -0.5, v[118:119]
	v_add_f64 v[110:111], v[120:121], -v[110:111]
	v_fma_f64 v[118:119], v[66:67], -0.5, v[128:129]
	v_add_f64 v[120:121], v[126:127], -v[122:123]
	ds_write_b128 v228, v[36:39]
	ds_write_b128 v228, v[48:51] offset:144
	ds_write_b128 v228, v[52:55] offset:288
	v_add_f64 v[114:115], v[128:129], v[58:59]
	v_add_f64 v[126:127], v[130:131], v[126:127]
	v_fma_f64 v[128:129], v[108:109], -0.5, v[130:131]
	v_add_f64 v[130:131], v[58:59], -v[132:133]
	v_add_f64 v[58:59], v[62:63], v[124:125]
	v_fma_f64 v[62:63], v[110:111], s[2:3], v[112:113]
	v_fma_f64 v[66:67], v[110:111], s[6:7], v[112:113]
	;; [unrolled: 1-line block ×4, first 2 shown]
	buffer_load_dword v120, off, s[44:47], 0 ; 4-byte Folded Reload
	v_add_f64 v[116:117], v[114:115], v[132:133]
	v_add_f64 v[118:119], v[126:127], v[122:123]
	v_fma_f64 v[114:115], v[130:131], s[2:3], v[128:129]
	v_fma_f64 v[110:111], v[130:131], s[6:7], v[128:129]
	s_waitcnt vmcnt(0)
	ds_write_b128 v120, v[56:59]
	ds_write_b128 v120, v[60:63] offset:144
	ds_write_b128 v120, v[64:67] offset:288
	ds_write_b128 v236, v[116:119]
	ds_write_b128 v236, v[112:115] offset:144
	ds_write_b128 v236, v[108:111] offset:288
	s_waitcnt lgkmcnt(0)
	s_barrier
	s_and_saveexec_b64 s[2:3], s[0:1]
	s_cbranch_execz .LBB0_7
; %bb.6:
	ds_read_b128 v[36:39], v235
	ds_read_b128 v[48:51], v235 offset:432
	ds_read_b128 v[52:55], v235 offset:864
	;; [unrolled: 1-line block ×10, first 2 shown]
.LBB0_7:
	s_or_b64 exec, exec, s[2:3]
	s_and_saveexec_b64 s[2:3], s[0:1]
	s_cbranch_execz .LBB0_9
; %bb.8:
	s_waitcnt lgkmcnt(5)
	v_mul_f64 v[120:121], v[98:99], v[66:67]
	s_waitcnt lgkmcnt(4)
	v_mul_f64 v[122:123], v[94:95], v[118:119]
	v_mul_f64 v[124:125], v[94:95], v[116:117]
	;; [unrolled: 1-line block ×4, first 2 shown]
	s_waitcnt lgkmcnt(3)
	v_mul_f64 v[128:129], v[90:91], v[114:115]
	s_mov_b32 s20, 0xfd768dbf
	s_mov_b32 s21, 0xbfd207e7
	v_fma_f64 v[94:95], v[96:97], v[64:65], v[120:121]
	v_fma_f64 v[64:65], v[92:93], v[116:117], v[122:123]
	v_mul_f64 v[116:117], v[74:75], v[60:61]
	v_fma_f64 v[74:75], v[92:93], v[118:119], -v[124:125]
	s_waitcnt lgkmcnt(2)
	v_mul_f64 v[118:119], v[86:87], v[110:111]
	v_mul_f64 v[120:121], v[90:91], v[112:113]
	v_fma_f64 v[90:91], v[96:97], v[66:67], -v[98:99]
	v_fma_f64 v[66:67], v[88:89], v[112:113], v[128:129]
	v_mul_f64 v[112:113], v[70:71], v[58:59]
	v_mul_f64 v[70:71], v[70:71], v[56:57]
	v_fma_f64 v[98:99], v[72:73], v[62:63], -v[116:117]
	v_mul_f64 v[122:123], v[46:47], v[48:49]
	v_fma_f64 v[62:63], v[84:85], v[108:109], v[118:119]
	v_mul_f64 v[108:109], v[86:87], v[108:109]
	s_waitcnt lgkmcnt(0)
	v_mul_f64 v[118:119], v[82:83], v[106:107]
	v_mul_f64 v[124:125], v[82:83], v[104:105]
	v_fma_f64 v[112:113], v[68:69], v[56:57], v[112:113]
	v_fma_f64 v[68:69], v[68:69], v[58:59], -v[70:71]
	v_fma_f64 v[96:97], v[72:73], v[60:61], v[126:127]
	v_mul_f64 v[70:71], v[42:43], v[54:55]
	v_mul_f64 v[42:43], v[42:43], v[52:53]
	v_fma_f64 v[58:59], v[84:85], v[110:111], -v[108:109]
	v_mul_f64 v[110:111], v[46:47], v[50:51]
	v_mul_f64 v[108:109], v[78:79], v[102:103]
	v_fma_f64 v[46:47], v[80:81], v[104:105], v[118:119]
	v_fma_f64 v[118:119], v[44:45], v[50:51], -v[122:123]
	s_mov_b32 s26, 0xf8bb580b
	v_fma_f64 v[82:83], v[40:41], v[52:53], v[70:71]
	v_fma_f64 v[54:55], v[40:41], v[54:55], -v[42:43]
	s_mov_b32 s18, 0x9bcd5057
	v_fma_f64 v[126:127], v[44:45], v[48:49], v[110:111]
	v_mul_f64 v[48:49], v[78:79], v[100:101]
	v_fma_f64 v[44:45], v[80:81], v[106:107], -v[124:125]
	v_fma_f64 v[70:71], v[76:77], v[100:101], v[108:109]
	s_mov_b32 s27, 0x3fe14ced
	s_mov_b32 s19, 0xbfeeb42a
	v_fma_f64 v[72:73], v[88:89], v[114:115], -v[120:121]
	v_add_f64 v[86:87], v[112:113], -v[62:63]
	v_add_f64 v[122:123], v[126:127], -v[46:47]
	v_fma_f64 v[48:49], v[76:77], v[102:103], -v[48:49]
	v_add_f64 v[124:125], v[118:119], -v[44:45]
	v_add_f64 v[80:81], v[82:83], -v[70:71]
	v_add_f64 v[128:129], v[118:119], v[44:45]
	v_add_f64 v[132:133], v[126:127], v[46:47]
	v_add_f64 v[136:137], v[68:69], -v[58:59]
	v_add_f64 v[138:139], v[82:83], v[70:71]
	v_mul_f64 v[40:41], v[122:123], s[20:21]
	v_add_f64 v[130:131], v[54:55], -v[48:49]
	v_mul_f64 v[50:51], v[124:125], s[20:21]
	v_mul_f64 v[42:43], v[80:81], s[26:27]
	v_add_f64 v[134:135], v[54:55], v[48:49]
	s_mov_b32 s14, 0xbb3a28a1
	s_mov_b32 s22, 0x8764f0ba
	s_mov_b32 s15, 0xbfe82f19
	v_fma_f64 v[52:53], v[128:129], s[18:19], v[40:41]
	v_mul_f64 v[76:77], v[130:131], s[26:27]
	v_fma_f64 v[78:79], v[132:133], s[18:19], -v[50:51]
	s_mov_b32 s23, 0x3feaeb8c
	v_add_f64 v[88:89], v[96:97], -v[66:67]
	v_mul_f64 v[120:121], v[86:87], s[14:15]
	v_add_f64 v[84:85], v[68:69], v[58:59]
	v_fma_f64 v[100:101], v[134:135], s[22:23], v[42:43]
	v_add_f64 v[52:53], v[38:39], v[52:53]
	v_add_f64 v[140:141], v[98:99], -v[72:73]
	v_add_f64 v[142:143], v[112:113], v[62:63]
	v_mul_f64 v[102:103], v[136:137], s[14:15]
	v_fma_f64 v[104:105], v[138:139], s[22:23], -v[76:77]
	v_add_f64 v[78:79], v[36:37], v[78:79]
	v_fma_f64 v[40:41], v[128:129], s[18:19], -v[40:41]
	s_mov_b32 s16, 0x7f775887
	s_mov_b32 s7, 0x3fed1bb4
	s_mov_b32 s6, 0x8eee2c13
	s_mov_b32 s17, 0xbfe4f49e
	v_mul_f64 v[116:117], v[88:89], s[6:7]
	v_add_f64 v[56:57], v[98:99], v[72:73]
	v_fma_f64 v[106:107], v[84:85], s[16:17], v[120:121]
	v_add_f64 v[52:53], v[100:101], v[52:53]
	v_add_f64 v[145:146], v[90:91], -v[74:75]
	v_add_f64 v[147:148], v[96:97], v[66:67]
	v_mul_f64 v[100:101], v[140:141], s[6:7]
	v_fma_f64 v[108:109], v[142:143], s[16:17], -v[102:103]
	v_add_f64 v[78:79], v[104:105], v[78:79]
	v_fma_f64 v[42:43], v[134:135], s[22:23], -v[42:43]
	v_add_f64 v[40:41], v[38:39], v[40:41]
	s_mov_b32 s0, 0x43842ef
	s_mov_b32 s12, 0xd9c712b6
	;; [unrolled: 1-line block ×4, first 2 shown]
	v_add_f64 v[92:93], v[94:95], -v[64:65]
	v_fma_f64 v[104:105], v[56:57], s[12:13], v[116:117]
	v_add_f64 v[52:53], v[106:107], v[52:53]
	v_add_f64 v[149:150], v[94:95], v[64:65]
	v_mul_f64 v[106:107], v[145:146], s[0:1]
	v_fma_f64 v[110:111], v[147:148], s[12:13], -v[100:101]
	v_add_f64 v[78:79], v[108:109], v[78:79]
	v_fma_f64 v[108:109], v[84:85], s[16:17], -v[120:121]
	v_add_f64 v[40:41], v[42:43], v[40:41]
	s_mov_b32 s24, 0x640f44db
	s_mov_b32 s25, 0xbfc2375f
	v_add_f64 v[60:61], v[90:91], v[74:75]
	v_mul_f64 v[114:115], v[92:93], s[0:1]
	v_add_f64 v[52:53], v[104:105], v[52:53]
	v_fma_f64 v[104:105], v[149:150], s[24:25], -v[106:107]
	v_add_f64 v[78:79], v[110:111], v[78:79]
	v_fma_f64 v[110:111], v[56:57], s[12:13], -v[116:117]
	v_add_f64 v[108:109], v[108:109], v[40:41]
	v_fma_f64 v[50:51], v[132:133], s[18:19], v[50:51]
	s_mov_b32 s31, 0x3fefac9e
	v_fma_f64 v[42:43], v[60:61], s[24:25], v[114:115]
	s_mov_b32 s30, s0
	v_fma_f64 v[76:77], v[138:139], s[22:23], v[76:77]
	v_add_f64 v[40:41], v[104:105], v[78:79]
	v_fma_f64 v[104:105], v[149:150], s[24:25], v[106:107]
	v_add_f64 v[78:79], v[110:111], v[108:109]
	v_mul_f64 v[106:107], v[122:123], s[14:15]
	v_mul_f64 v[108:109], v[124:125], s[14:15]
	v_add_f64 v[42:43], v[42:43], v[52:53]
	v_fma_f64 v[52:53], v[60:61], s[24:25], -v[114:115]
	v_mul_f64 v[110:111], v[80:81], s[30:31]
	v_add_f64 v[50:51], v[36:37], v[50:51]
	v_mul_f64 v[116:117], v[130:131], s[30:31]
	s_mov_b32 s29, 0xbfe14ced
	v_fma_f64 v[114:115], v[128:129], s[16:17], v[106:107]
	v_fma_f64 v[120:121], v[132:133], s[16:17], -v[108:109]
	s_mov_b32 s28, s26
	v_fma_f64 v[102:103], v[142:143], s[16:17], v[102:103]
	v_mul_f64 v[151:152], v[86:87], s[28:29]
	v_fma_f64 v[153:154], v[134:135], s[24:25], v[110:111]
	v_add_f64 v[50:51], v[76:77], v[50:51]
	v_fma_f64 v[76:77], v[147:148], s[12:13], v[100:101]
	v_add_f64 v[114:115], v[38:39], v[114:115]
	v_mul_f64 v[100:101], v[136:137], s[28:29]
	v_fma_f64 v[155:156], v[138:139], s[24:25], -v[116:117]
	v_add_f64 v[120:121], v[36:37], v[120:121]
	v_mul_f64 v[157:158], v[88:89], s[20:21]
	v_fma_f64 v[159:160], v[84:85], s[22:23], v[151:152]
	v_add_f64 v[50:51], v[102:103], v[50:51]
	v_fma_f64 v[102:103], v[128:129], s[16:17], -v[106:107]
	v_add_f64 v[114:115], v[153:154], v[114:115]
	v_mul_f64 v[106:107], v[140:141], s[20:21]
	v_fma_f64 v[153:154], v[142:143], s[22:23], -v[100:101]
	v_add_f64 v[120:121], v[155:156], v[120:121]
	v_mul_f64 v[155:156], v[92:93], s[6:7]
	v_fma_f64 v[161:162], v[56:57], s[18:19], v[157:158]
	v_fma_f64 v[110:111], v[134:135], s[24:25], -v[110:111]
	v_add_f64 v[102:103], v[38:39], v[102:103]
	v_add_f64 v[114:115], v[159:160], v[114:115]
	v_mul_f64 v[159:160], v[145:146], s[6:7]
	v_fma_f64 v[163:164], v[147:148], s[18:19], -v[106:107]
	v_add_f64 v[120:121], v[153:154], v[120:121]
	v_fma_f64 v[108:109], v[132:133], s[16:17], v[108:109]
	v_add_f64 v[50:51], v[76:77], v[50:51]
	v_fma_f64 v[76:77], v[60:61], s[12:13], v[155:156]
	v_add_f64 v[102:103], v[110:111], v[102:103]
	v_add_f64 v[110:111], v[161:162], v[114:115]
	v_fma_f64 v[114:115], v[149:150], s[12:13], -v[159:160]
	v_fma_f64 v[116:117], v[138:139], s[24:25], v[116:117]
	v_add_f64 v[120:121], v[163:164], v[120:121]
	v_add_f64 v[108:109], v[36:37], v[108:109]
	v_fma_f64 v[151:152], v[84:85], s[22:23], -v[151:152]
	v_add_f64 v[52:53], v[52:53], v[78:79]
	v_fma_f64 v[100:101], v[142:143], s[22:23], v[100:101]
	v_add_f64 v[78:79], v[76:77], v[110:111]
	v_mul_f64 v[110:111], v[122:123], s[0:1]
	s_mov_b32 s35, 0x3fd207e7
	v_add_f64 v[76:77], v[114:115], v[120:121]
	v_add_f64 v[108:109], v[116:117], v[108:109]
	v_mul_f64 v[114:115], v[124:125], s[0:1]
	s_mov_b32 s34, s20
	v_fma_f64 v[153:154], v[56:57], s[18:19], -v[157:158]
	v_add_f64 v[102:103], v[151:152], v[102:103]
	v_fma_f64 v[106:107], v[147:148], s[18:19], v[106:107]
	v_mul_f64 v[116:117], v[80:81], s[34:35]
	v_fma_f64 v[120:121], v[128:129], s[24:25], v[110:111]
	v_add_f64 v[100:101], v[100:101], v[108:109]
	v_mul_f64 v[108:109], v[130:131], s[34:35]
	v_fma_f64 v[151:152], v[132:133], s[24:25], -v[114:115]
	v_add_f64 v[50:51], v[104:105], v[50:51]
	v_fma_f64 v[104:105], v[60:61], s[12:13], -v[155:156]
	v_add_f64 v[102:103], v[153:154], v[102:103]
	v_mul_f64 v[153:154], v[86:87], s[6:7]
	v_fma_f64 v[155:156], v[134:135], s[18:19], v[116:117]
	v_add_f64 v[120:121], v[38:39], v[120:121]
	v_add_f64 v[100:101], v[106:107], v[100:101]
	v_mul_f64 v[157:158], v[136:137], s[6:7]
	v_fma_f64 v[106:107], v[128:129], s[24:25], -v[110:111]
	v_fma_f64 v[110:111], v[138:139], s[18:19], -v[108:109]
	v_add_f64 v[151:152], v[36:37], v[151:152]
	v_add_f64 v[102:103], v[104:105], v[102:103]
	v_fma_f64 v[104:105], v[149:150], s[12:13], v[159:160]
	v_mul_f64 v[159:160], v[88:89], s[28:29]
	v_fma_f64 v[161:162], v[84:85], s[12:13], v[153:154]
	v_add_f64 v[120:121], v[155:156], v[120:121]
	v_mul_f64 v[155:156], v[140:141], s[28:29]
	v_fma_f64 v[116:117], v[134:135], s[18:19], -v[116:117]
	v_add_f64 v[106:107], v[38:39], v[106:107]
	v_fma_f64 v[163:164], v[142:143], s[12:13], -v[157:158]
	v_add_f64 v[110:111], v[110:111], v[151:152]
	v_mul_f64 v[151:152], v[92:93], s[14:15]
	v_fma_f64 v[165:166], v[56:57], s[22:23], v[159:160]
	v_add_f64 v[120:121], v[161:162], v[120:121]
	v_mul_f64 v[161:162], v[145:146], s[14:15]
	v_fma_f64 v[153:154], v[84:85], s[12:13], -v[153:154]
	v_add_f64 v[106:107], v[116:117], v[106:107]
	v_fma_f64 v[116:117], v[147:148], s[22:23], -v[155:156]
	v_add_f64 v[110:111], v[163:164], v[110:111]
	v_fma_f64 v[114:115], v[132:133], s[24:25], v[114:115]
	v_add_f64 v[100:101], v[104:105], v[100:101]
	v_fma_f64 v[104:105], v[60:61], s[16:17], v[151:152]
	v_add_f64 v[120:121], v[165:166], v[120:121]
	v_fma_f64 v[159:160], v[56:57], s[22:23], -v[159:160]
	v_add_f64 v[106:107], v[153:154], v[106:107]
	v_fma_f64 v[153:154], v[149:150], s[16:17], -v[161:162]
	v_add_f64 v[110:111], v[116:117], v[110:111]
	v_fma_f64 v[108:109], v[138:139], s[18:19], v[108:109]
	v_add_f64 v[114:115], v[36:37], v[114:115]
	s_mov_b32 s7, 0xbfed1bb4
	v_fma_f64 v[116:117], v[60:61], s[16:17], -v[151:152]
	v_mul_f64 v[151:152], v[122:123], s[6:7]
	v_add_f64 v[159:160], v[159:160], v[106:107]
	v_add_f64 v[106:107], v[104:105], v[120:121]
	;; [unrolled: 1-line block ×3, first 2 shown]
	v_fma_f64 v[153:154], v[142:143], s[12:13], v[157:158]
	v_add_f64 v[108:109], v[108:109], v[114:115]
	v_mul_f64 v[120:121], v[124:125], s[6:7]
	v_fma_f64 v[114:115], v[147:148], s[22:23], v[155:156]
	v_add_f64 v[118:119], v[38:39], v[118:119]
	v_add_f64 v[126:127], v[36:37], v[126:127]
	v_mul_f64 v[157:158], v[80:81], s[14:15]
	v_add_f64 v[110:111], v[116:117], v[159:160]
	v_mul_f64 v[116:117], v[130:131], s[14:15]
	v_add_f64 v[108:109], v[153:154], v[108:109]
	v_fma_f64 v[155:156], v[132:133], s[12:13], -v[120:121]
	v_fma_f64 v[163:164], v[128:129], s[12:13], v[151:152]
	v_add_f64 v[54:55], v[118:119], v[54:55]
	v_add_f64 v[118:119], v[126:127], v[82:83]
	v_mul_f64 v[159:160], v[86:87], s[34:35]
	v_fma_f64 v[165:166], v[134:135], s[16:17], v[157:158]
	v_fma_f64 v[167:168], v[138:139], s[16:17], -v[116:117]
	v_add_f64 v[108:109], v[114:115], v[108:109]
	v_fma_f64 v[114:115], v[128:129], s[12:13], -v[151:152]
	v_add_f64 v[155:156], v[36:37], v[155:156]
	;; [unrolled: 2-line block ×3, first 2 shown]
	v_add_f64 v[68:69], v[118:119], v[112:113]
	v_add_f64 v[163:164], v[38:39], v[163:164]
	v_fma_f64 v[153:154], v[149:150], s[16:17], v[161:162]
	v_mul_f64 v[161:162], v[136:137], s[34:35]
	v_add_f64 v[114:115], v[38:39], v[114:115]
	v_fma_f64 v[171:172], v[84:85], s[18:19], v[159:160]
	v_add_f64 v[155:156], v[167:168], v[155:156]
	v_mul_f64 v[167:168], v[92:93], s[26:27]
	v_fma_f64 v[159:160], v[84:85], s[18:19], -v[159:160]
	v_fma_f64 v[120:121], v[132:133], s[12:13], v[120:121]
	v_mul_f64 v[122:123], v[122:123], s[28:29]
	v_add_f64 v[54:55], v[54:55], v[98:99]
	v_add_f64 v[114:115], v[157:158], v[114:115]
	;; [unrolled: 1-line block ×3, first 2 shown]
	v_mul_f64 v[169:170], v[88:89], s[30:31]
	v_add_f64 v[163:164], v[165:166], v[163:164]
	v_fma_f64 v[165:166], v[142:143], s[18:19], -v[161:162]
	v_mul_f64 v[98:99], v[124:125], s[28:29]
	v_add_f64 v[108:109], v[153:154], v[108:109]
	v_fma_f64 v[153:154], v[60:61], s[22:23], v[167:168]
	v_fma_f64 v[116:117], v[138:139], s[16:17], v[116:117]
	v_add_f64 v[120:121], v[36:37], v[120:121]
	v_add_f64 v[114:115], v[159:160], v[114:115]
	v_fma_f64 v[159:160], v[60:61], s[22:23], -v[167:168]
	v_mul_f64 v[80:81], v[80:81], s[6:7]
	v_fma_f64 v[167:168], v[128:129], s[22:23], v[122:123]
	v_fma_f64 v[122:123], v[128:129], s[22:23], -v[122:123]
	v_add_f64 v[54:55], v[54:55], v[90:91]
	v_add_f64 v[68:69], v[68:69], v[94:95]
	;; [unrolled: 1-line block ×3, first 2 shown]
	v_fma_f64 v[165:166], v[56:57], s[24:25], -v[169:170]
	v_mul_f64 v[90:91], v[130:131], s[6:7]
	v_fma_f64 v[94:95], v[132:133], s[22:23], v[98:99]
	v_add_f64 v[116:117], v[116:117], v[120:121]
	v_mul_f64 v[86:87], v[86:87], s[0:1]
	v_fma_f64 v[120:121], v[134:135], s[12:13], v[80:81]
	v_add_f64 v[126:127], v[38:39], v[167:168]
	v_fma_f64 v[98:99], v[132:133], s[22:23], -v[98:99]
	v_fma_f64 v[80:81], v[134:135], s[12:13], -v[80:81]
	v_add_f64 v[38:39], v[38:39], v[122:123]
	v_add_f64 v[54:55], v[54:55], v[74:75]
	;; [unrolled: 1-line block ×4, first 2 shown]
	v_mul_f64 v[124:125], v[136:137], s[0:1]
	v_fma_f64 v[68:69], v[138:139], s[12:13], v[90:91]
	v_add_f64 v[74:75], v[36:37], v[94:95]
	v_mul_f64 v[88:89], v[88:89], s[14:15]
	v_fma_f64 v[112:113], v[84:85], s[24:25], v[86:87]
	v_fma_f64 v[90:91], v[138:139], s[12:13], -v[90:91]
	v_add_f64 v[36:37], v[36:37], v[98:99]
	v_fma_f64 v[84:85], v[84:85], s[24:25], -v[86:87]
	v_add_f64 v[38:39], v[80:81], v[38:39]
	v_add_f64 v[54:55], v[54:55], v[72:73]
	;; [unrolled: 1-line block ×5, first 2 shown]
	v_mul_f64 v[120:121], v[140:141], s[14:15]
	v_fma_f64 v[66:67], v[142:143], s[24:25], v[124:125]
	v_add_f64 v[68:69], v[68:69], v[74:75]
	v_mul_f64 v[151:152], v[140:141], s[30:31]
	v_fma_f64 v[161:162], v[142:143], s[18:19], v[161:162]
	v_fma_f64 v[173:174], v[56:57], s[24:25], v[169:170]
	;; [unrolled: 1-line block ×3, first 2 shown]
	v_fma_f64 v[72:73], v[142:143], s[24:25], -v[124:125]
	v_add_f64 v[36:37], v[90:91], v[36:37]
	v_fma_f64 v[56:57], v[56:57], s[16:17], -v[88:89]
	v_add_f64 v[38:39], v[84:85], v[38:39]
	v_add_f64 v[54:55], v[54:55], v[58:59]
	v_add_f64 v[58:59], v[64:65], v[62:63]
	v_mul_f64 v[92:93], v[92:93], s[20:21]
	v_add_f64 v[112:113], v[112:113], v[114:115]
	v_mul_f64 v[114:115], v[145:146], s[20:21]
	v_fma_f64 v[62:63], v[147:148], s[16:17], v[120:121]
	v_add_f64 v[64:65], v[66:67], v[68:69]
	v_add_f64 v[163:164], v[171:172], v[163:164]
	v_mul_f64 v[171:172], v[145:146], s[26:27]
	v_fma_f64 v[175:176], v[147:148], s[24:25], -v[151:152]
	v_fma_f64 v[151:152], v[147:148], s[24:25], v[151:152]
	v_add_f64 v[116:117], v[161:162], v[116:117]
	v_fma_f64 v[66:67], v[147:148], s[16:17], -v[120:121]
	v_add_f64 v[36:37], v[72:73], v[36:37]
	v_add_f64 v[56:57], v[56:57], v[38:39]
	;; [unrolled: 1-line block ×4, first 2 shown]
	v_fma_f64 v[68:69], v[60:61], s[18:19], -v[92:93]
	v_fma_f64 v[54:55], v[149:150], s[18:19], v[114:115]
	v_add_f64 v[58:59], v[62:63], v[64:65]
	v_fma_f64 v[118:119], v[149:150], s[22:23], v[171:172]
	v_add_f64 v[116:117], v[151:152], v[116:117]
	v_add_f64 v[66:67], v[66:67], v[36:37]
	;; [unrolled: 1-line block ×5, first 2 shown]
	v_fma_f64 v[163:164], v[149:150], s[22:23], -v[171:172]
	v_add_f64 v[155:156], v[175:176], v[155:156]
	v_fma_f64 v[60:61], v[60:61], s[18:19], v[92:93]
	v_add_f64 v[62:63], v[96:97], v[112:113]
	v_fma_f64 v[64:65], v[149:150], s[18:19], -v[114:115]
	v_add_f64 v[46:47], v[68:69], v[56:57]
	v_add_f64 v[44:45], v[54:55], v[58:59]
	;; [unrolled: 1-line block ×3, first 2 shown]
	ds_write_b128 v235, v[36:39]
	v_lshl_add_u32 v36, v255, 4, v227
	v_add_f64 v[56:57], v[153:154], v[157:158]
	v_add_f64 v[54:55], v[163:164], v[155:156]
	;; [unrolled: 1-line block ×4, first 2 shown]
	ds_write_b128 v36, v[44:47] offset:432
	ds_write_b128 v36, v[80:83] offset:864
	;; [unrolled: 1-line block ×10, first 2 shown]
.LBB0_9:
	s_or_b64 exec, exec, s[2:3]
	s_waitcnt lgkmcnt(0)
	s_barrier
	ds_read_b128 v[36:39], v235
	ds_read_b128 v[40:43], v235 offset:528
	v_mad_u64_u32 v[44:45], s[0:1], s10, v144, 0
	s_mul_i32 s2, s9, 0x210
	s_waitcnt lgkmcnt(1)
	v_mul_f64 v[46:47], v[34:35], v[38:39]
	v_mul_f64 v[34:35], v[34:35], v[36:37]
	s_mul_hi_u32 s3, s8, 0x210
	s_add_i32 s2, s3, s2
	s_mul_i32 s3, s8, 0x210
	v_mad_u64_u32 v[48:49], s[0:1], s11, v144, v[45:46]
	v_mad_u64_u32 v[49:50], s[0:1], s8, v255, 0
	v_fma_f64 v[36:37], v[32:33], v[36:37], v[46:47]
	v_fma_f64 v[34:35], v[32:33], v[38:39], -v[34:35]
	v_mov_b32_e32 v32, v50
	v_mad_u64_u32 v[38:39], s[0:1], s9, v255, v[32:33]
	s_mov_b32 s0, 0x2b18ff23
	s_mov_b32 s1, 0x3f6b951e
	v_mov_b32_e32 v50, v38
	s_waitcnt lgkmcnt(0)
	v_mul_f64 v[38:39], v[18:19], v[42:43]
	v_mul_f64 v[18:19], v[18:19], v[40:41]
	v_mov_b32_e32 v45, v48
	v_mul_f64 v[32:33], v[36:37], s[0:1]
	v_mul_f64 v[34:35], v[34:35], s[0:1]
	v_lshlrev_b64 v[36:37], 4, v[44:45]
	v_mov_b32_e32 v44, s5
	v_add_co_u32_e32 v45, vcc, s4, v36
	v_fma_f64 v[38:39], v[16:17], v[40:41], v[38:39]
	v_fma_f64 v[40:41], v[16:17], v[42:43], -v[18:19]
	ds_read_b128 v[16:19], v235 offset:1056
	v_addc_co_u32_e32 v44, vcc, v44, v37, vcc
	v_lshlrev_b64 v[36:37], 4, v[49:50]
	v_mov_b32_e32 v46, s2
	v_add_co_u32_e32 v42, vcc, v45, v36
	v_addc_co_u32_e32 v43, vcc, v44, v37, vcc
	global_store_dwordx4 v[42:43], v[32:35], off
	v_add_co_u32_e32 v42, vcc, s3, v42
	v_mul_f64 v[32:33], v[38:39], s[0:1]
	ds_read_b128 v[36:39], v235 offset:1584
	s_waitcnt lgkmcnt(1)
	v_mul_f64 v[44:45], v[26:27], v[18:19]
	v_mul_f64 v[26:27], v[26:27], v[16:17]
	;; [unrolled: 1-line block ×3, first 2 shown]
	v_addc_co_u32_e32 v43, vcc, v43, v46, vcc
	s_waitcnt lgkmcnt(0)
	v_mul_f64 v[40:41], v[10:11], v[38:39]
	v_mul_f64 v[10:11], v[10:11], v[36:37]
	v_fma_f64 v[16:17], v[24:25], v[16:17], v[44:45]
	v_fma_f64 v[18:19], v[24:25], v[18:19], -v[26:27]
	ds_read_b128 v[24:27], v235 offset:2112
	global_store_dwordx4 v[42:43], v[32:35], off
	v_mov_b32_e32 v44, s2
	v_fma_f64 v[32:33], v[8:9], v[36:37], v[40:41]
	v_fma_f64 v[34:35], v[8:9], v[38:39], -v[10:11]
	ds_read_b128 v[8:11], v235 offset:2640
	v_mul_f64 v[16:17], v[16:17], s[0:1]
	v_mul_f64 v[18:19], v[18:19], s[0:1]
	s_waitcnt lgkmcnt(1)
	v_mul_f64 v[36:37], v[30:31], v[26:27]
	v_mul_f64 v[30:31], v[30:31], v[24:25]
	v_add_co_u32_e32 v38, vcc, s3, v42
	v_addc_co_u32_e32 v39, vcc, v43, v44, vcc
	global_store_dwordx4 v[38:39], v[16:19], off
	s_nop 0
	v_mul_f64 v[16:17], v[32:33], s[0:1]
	v_mul_f64 v[18:19], v[34:35], s[0:1]
	v_fma_f64 v[24:25], v[28:29], v[24:25], v[36:37]
	v_fma_f64 v[26:27], v[28:29], v[26:27], -v[30:31]
	s_waitcnt lgkmcnt(0)
	v_mul_f64 v[28:29], v[6:7], v[10:11]
	v_mul_f64 v[6:7], v[6:7], v[8:9]
	v_mov_b32_e32 v32, s2
	v_add_co_u32_e32 v30, vcc, s3, v38
	v_addc_co_u32_e32 v31, vcc, v39, v32, vcc
	global_store_dwordx4 v[30:31], v[16:19], off
	v_fma_f64 v[8:9], v[4:5], v[8:9], v[28:29]
	v_mul_f64 v[16:17], v[24:25], s[0:1]
	v_mul_f64 v[18:19], v[26:27], s[0:1]
	ds_read_b128 v[24:27], v235 offset:3168
	v_fma_f64 v[10:11], v[4:5], v[10:11], -v[6:7]
	ds_read_b128 v[4:7], v235 offset:3696
	v_add_co_u32_e32 v30, vcc, s3, v30
	s_waitcnt lgkmcnt(1)
	v_mul_f64 v[28:29], v[22:23], v[26:27]
	v_mul_f64 v[22:23], v[22:23], v[24:25]
	v_addc_co_u32_e32 v31, vcc, v31, v32, vcc
	global_store_dwordx4 v[30:31], v[16:19], off
	ds_read_b128 v[16:19], v235 offset:4224
	v_mul_f64 v[8:9], v[8:9], s[0:1]
	v_mul_f64 v[10:11], v[10:11], s[0:1]
	v_fma_f64 v[24:25], v[20:21], v[24:25], v[28:29]
	v_fma_f64 v[20:21], v[20:21], v[26:27], -v[22:23]
	s_waitcnt lgkmcnt(1)
	v_mul_f64 v[26:27], v[2:3], v[6:7]
	v_mul_f64 v[2:3], v[2:3], v[4:5]
	s_waitcnt lgkmcnt(0)
	v_mul_f64 v[28:29], v[14:15], v[18:19]
	v_mul_f64 v[14:15], v[14:15], v[16:17]
	v_add_co_u32_e32 v22, vcc, s3, v30
	v_addc_co_u32_e32 v23, vcc, v31, v32, vcc
	v_fma_f64 v[4:5], v[0:1], v[4:5], v[26:27]
	v_fma_f64 v[2:3], v[0:1], v[6:7], -v[2:3]
	v_fma_f64 v[6:7], v[12:13], v[16:17], v[28:29]
	v_fma_f64 v[12:13], v[12:13], v[18:19], -v[14:15]
	global_store_dwordx4 v[22:23], v[8:11], off
	v_add_co_u32_e32 v14, vcc, s3, v22
	v_mul_f64 v[8:9], v[24:25], s[0:1]
	v_mul_f64 v[10:11], v[20:21], s[0:1]
	;; [unrolled: 1-line block ×6, first 2 shown]
	v_mov_b32_e32 v20, s2
	v_addc_co_u32_e32 v15, vcc, v23, v20, vcc
	global_store_dwordx4 v[14:15], v[8:11], off
	s_nop 0
	v_mov_b32_e32 v9, s2
	v_add_co_u32_e32 v8, vcc, s3, v14
	v_addc_co_u32_e32 v9, vcc, v15, v9, vcc
	global_store_dwordx4 v[8:9], v[0:3], off
	s_nop 0
	v_mov_b32_e32 v1, s2
	v_add_co_u32_e32 v0, vcc, s3, v8
	v_addc_co_u32_e32 v1, vcc, v9, v1, vcc
	global_store_dwordx4 v[0:1], v[4:7], off
.LBB0_10:
	s_endpgm
	.section	.rodata,"a",@progbits
	.p2align	6, 0x0
	.amdhsa_kernel bluestein_single_back_len297_dim1_dp_op_CI_CI
		.amdhsa_group_segment_fixed_size 33264
		.amdhsa_private_segment_fixed_size 280
		.amdhsa_kernarg_size 104
		.amdhsa_user_sgpr_count 6
		.amdhsa_user_sgpr_private_segment_buffer 1
		.amdhsa_user_sgpr_dispatch_ptr 0
		.amdhsa_user_sgpr_queue_ptr 0
		.amdhsa_user_sgpr_kernarg_segment_ptr 1
		.amdhsa_user_sgpr_dispatch_id 0
		.amdhsa_user_sgpr_flat_scratch_init 0
		.amdhsa_user_sgpr_private_segment_size 0
		.amdhsa_uses_dynamic_stack 0
		.amdhsa_system_sgpr_private_segment_wavefront_offset 1
		.amdhsa_system_sgpr_workgroup_id_x 1
		.amdhsa_system_sgpr_workgroup_id_y 0
		.amdhsa_system_sgpr_workgroup_id_z 0
		.amdhsa_system_sgpr_workgroup_info 0
		.amdhsa_system_vgpr_workitem_id 0
		.amdhsa_next_free_vgpr 256
		.amdhsa_next_free_sgpr 48
		.amdhsa_reserve_vcc 1
		.amdhsa_reserve_flat_scratch 0
		.amdhsa_float_round_mode_32 0
		.amdhsa_float_round_mode_16_64 0
		.amdhsa_float_denorm_mode_32 3
		.amdhsa_float_denorm_mode_16_64 3
		.amdhsa_dx10_clamp 1
		.amdhsa_ieee_mode 1
		.amdhsa_fp16_overflow 0
		.amdhsa_exception_fp_ieee_invalid_op 0
		.amdhsa_exception_fp_denorm_src 0
		.amdhsa_exception_fp_ieee_div_zero 0
		.amdhsa_exception_fp_ieee_overflow 0
		.amdhsa_exception_fp_ieee_underflow 0
		.amdhsa_exception_fp_ieee_inexact 0
		.amdhsa_exception_int_div_zero 0
	.end_amdhsa_kernel
	.text
.Lfunc_end0:
	.size	bluestein_single_back_len297_dim1_dp_op_CI_CI, .Lfunc_end0-bluestein_single_back_len297_dim1_dp_op_CI_CI
                                        ; -- End function
	.section	.AMDGPU.csdata,"",@progbits
; Kernel info:
; codeLenInByte = 14160
; NumSgprs: 52
; NumVgprs: 256
; ScratchSize: 280
; MemoryBound: 0
; FloatMode: 240
; IeeeMode: 1
; LDSByteSize: 33264 bytes/workgroup (compile time only)
; SGPRBlocks: 6
; VGPRBlocks: 63
; NumSGPRsForWavesPerEU: 52
; NumVGPRsForWavesPerEU: 256
; Occupancy: 1
; WaveLimiterHint : 1
; COMPUTE_PGM_RSRC2:SCRATCH_EN: 1
; COMPUTE_PGM_RSRC2:USER_SGPR: 6
; COMPUTE_PGM_RSRC2:TRAP_HANDLER: 0
; COMPUTE_PGM_RSRC2:TGID_X_EN: 1
; COMPUTE_PGM_RSRC2:TGID_Y_EN: 0
; COMPUTE_PGM_RSRC2:TGID_Z_EN: 0
; COMPUTE_PGM_RSRC2:TIDIG_COMP_CNT: 0
	.type	__hip_cuid_62e7388c0c71443a,@object ; @__hip_cuid_62e7388c0c71443a
	.section	.bss,"aw",@nobits
	.globl	__hip_cuid_62e7388c0c71443a
__hip_cuid_62e7388c0c71443a:
	.byte	0                               ; 0x0
	.size	__hip_cuid_62e7388c0c71443a, 1

	.ident	"AMD clang version 19.0.0git (https://github.com/RadeonOpenCompute/llvm-project roc-6.4.0 25133 c7fe45cf4b819c5991fe208aaa96edf142730f1d)"
	.section	".note.GNU-stack","",@progbits
	.addrsig
	.addrsig_sym __hip_cuid_62e7388c0c71443a
	.amdgpu_metadata
---
amdhsa.kernels:
  - .args:
      - .actual_access:  read_only
        .address_space:  global
        .offset:         0
        .size:           8
        .value_kind:     global_buffer
      - .actual_access:  read_only
        .address_space:  global
        .offset:         8
        .size:           8
        .value_kind:     global_buffer
      - .actual_access:  read_only
        .address_space:  global
        .offset:         16
        .size:           8
        .value_kind:     global_buffer
      - .actual_access:  read_only
        .address_space:  global
        .offset:         24
        .size:           8
        .value_kind:     global_buffer
      - .actual_access:  read_only
        .address_space:  global
        .offset:         32
        .size:           8
        .value_kind:     global_buffer
      - .offset:         40
        .size:           8
        .value_kind:     by_value
      - .address_space:  global
        .offset:         48
        .size:           8
        .value_kind:     global_buffer
      - .address_space:  global
        .offset:         56
        .size:           8
        .value_kind:     global_buffer
      - .address_space:  global
        .offset:         64
        .size:           8
        .value_kind:     global_buffer
      - .address_space:  global
        .offset:         72
        .size:           8
        .value_kind:     global_buffer
      - .offset:         80
        .size:           4
        .value_kind:     by_value
      - .address_space:  global
        .offset:         88
        .size:           8
        .value_kind:     global_buffer
      - .address_space:  global
        .offset:         96
        .size:           8
        .value_kind:     global_buffer
    .group_segment_fixed_size: 33264
    .kernarg_segment_align: 8
    .kernarg_segment_size: 104
    .language:       OpenCL C
    .language_version:
      - 2
      - 0
    .max_flat_workgroup_size: 231
    .name:           bluestein_single_back_len297_dim1_dp_op_CI_CI
    .private_segment_fixed_size: 280
    .sgpr_count:     52
    .sgpr_spill_count: 0
    .symbol:         bluestein_single_back_len297_dim1_dp_op_CI_CI.kd
    .uniform_work_group_size: 1
    .uses_dynamic_stack: false
    .vgpr_count:     256
    .vgpr_spill_count: 69
    .wavefront_size: 64
amdhsa.target:   amdgcn-amd-amdhsa--gfx906
amdhsa.version:
  - 1
  - 2
...

	.end_amdgpu_metadata
